;; amdgpu-corpus repo=ROCm/aiter kind=harvested arch=n/a opt=n/a

/root/src/amdgpu-assembly/repos/ROCm__aiter/hsa/gfx942/allreduce_rmsnorm_N8192.co:	file format elf64-amdgpu

Disassembly of section .text:

0000000000002400 <allreduce_rmsnorm_N8192_kernel>:
	s_and_b32 s1, s1, 0xffff                                   // 000000002400: 8601FF01 0000FFFF
	s_load_dwordx2 s[12:13], s[0:1], 0x0                       // 000000002408: C0060300 00000000
	s_load_dwordx2 s[40:41], s[0:1], 0x10                      // 000000002410: C0060A00 00000010
	s_load_dwordx2 s[42:43], s[0:1], 0x20                      // 000000002418: C0060A80 00000020
	s_load_dwordx2 s[44:45], s[0:1], 0x30                      // 000000002420: C0060B00 00000030
	s_load_dwordx2 s[46:47], s[0:1], 0x40                      // 000000002428: C0060B80 00000040
	s_load_dwordx2 s[48:49], s[0:1], 0x50                      // 000000002430: C0060C00 00000050
	s_load_dwordx2 s[50:51], s[0:1], 0x60                      // 000000002438: C0060C80 00000060
	s_load_dwordx2 s[52:53], s[0:1], 0x70                      // 000000002440: C0060D00 00000070
	s_load_dwordx2 s[54:55], s[0:1], 0x80                      // 000000002448: C0060D80 00000080
	s_load_dwordx2 s[16:17], s[0:1], 0x90                      // 000000002450: C0060400 00000090
	s_load_dwordx2 s[58:59], s[0:1], 0xa0                      // 000000002458: C0060E80 000000A0
	s_load_dwordx2 s[20:21], s[0:1], 0xb0                      // 000000002460: C0060500 000000B0
	s_load_dwordx2 s[88:89], s[0:1], 0xc0                      // 000000002468: C0061600 000000C0
	s_load_dword s60, s[0:1], 0xd0                             // 000000002470: C0020F00 000000D0
	s_load_dword s61, s[0:1], 0xe0                             // 000000002478: C0020F40 000000E0
	s_load_dword s62, s[0:1], 0xf0                             // 000000002480: C0020F80 000000F0
	s_load_dword s63, s[0:1], 0x100                            // 000000002488: C0020FC0 00000100
	s_load_dword s92, s[0:1], 0x110                            // 000000002490: C0021700 00000110
	s_load_dword s6, s[0:1], 0x120                             // 000000002498: C0020180 00000120
	v_lshrrev_b32_e32 v1, 10, v0                               // 0000000024A0: 2002008A
	v_lshrrev_b32_e32 v2, 10, v1                               // 0000000024A4: 2004028A
	v_and_b32_e32 v2, 0x3ff, v2                                // 0000000024A8: 260404FF 000003FF
	v_and_b32_e32 v1, 0x3ff, v1                                // 0000000024B0: 260202FF 000003FF
	v_and_b32_e32 v0, 0x3ff, v0                                // 0000000024B8: 260000FF 000003FF
	v_lshrrev_b32_e32 v3, 6, v0                                // 0000000024C0: 20060086
	v_and_b32_e32 v0, 63, v0                                   // 0000000024C4: 260000BF
	s_mov_b32 s2, s2                                           // 0000000024C8: BE820002
	s_mov_b32 s3, s3                                           // 0000000024CC: BE830003
	s_mov_b32 s4, s4                                           // 0000000024D0: BE840004
	v_readfirstlane_b32 s5, v3                                 // 0000000024D4: 7E0A0503
	s_waitcnt lgkmcnt(0)                                       // 0000000024D8: BF8CC07F
	s_and_b32 s13, s13, 0xffff                                 // 0000000024DC: 860DFF0D 0000FFFF
	s_or_b32 s13, s13, 0x40000                                 // 0000000024E4: 870DFF0D 00040000
	s_mov_b32 s14, 0x80000000                                  // 0000000024EC: BE8E00FF 80000000
	s_mov_b32 s15, 0x20000                                     // 0000000024F4: BE8F00FF 00020000
	s_mul_i32 s84, 0x100, s5                                   // 0000000024FC: 925405FF 00000100
	s_mov_b32 m0, s84                                          // 000000002504: BEFC0054
	v_mov_b32_e32 v216, v0                                     // 000000002508: 7FB00300
	buffer_load_dword v216, s[12:15], 0 idxen lds              // 00000000250C: E0512000 800300D8
	s_and_b32 s59, s59, 0xffff                                 // 000000002514: 863BFF3B 0000FFFF
	s_or_b32 s59, s59, 0x40000                                 // 00000000251C: 873BFF3B 00040000
	s_and_b32 s21, s21, 0xffff                                 // 000000002524: 8615FF15 0000FFFF
	s_or_b32 s21, s21, 0x40000                                 // 00000000252C: 8715FF15 00040000
	s_and_b32 s89, s89, 0xffff                                 // 000000002534: 8659FF59 0000FFFF
	s_or_b32 s89, s89, 0x40000                                 // 00000000253C: 8759FF59 00040000
	s_mul_i32 s92, s92, 8                                      // 000000002544: 925C885C
	s_mul_i32 s84, s92, s60                                    // 000000002548: 92543C5C
	s_mul_i32 s85, s2, 8                                       // 00000000254C: 92558802
	s_add_i32 s93, s84, s85                                    // 000000002550: 815D5554
	s_and_b32 s41, s41, 0xffff                                 // 000000002554: 8629FF29 0000FFFF
	s_and_b32 s43, s43, 0xffff                                 // 00000000255C: 862BFF2B 0000FFFF
	s_and_b32 s45, s45, 0xffff                                 // 000000002564: 862DFF2D 0000FFFF
	s_and_b32 s47, s47, 0xffff                                 // 00000000256C: 862FFF2F 0000FFFF
	s_and_b32 s49, s49, 0xffff                                 // 000000002574: 8631FF31 0000FFFF
	s_and_b32 s51, s51, 0xffff                                 // 00000000257C: 8633FF33 0000FFFF
	s_and_b32 s53, s53, 0xffff                                 // 000000002584: 8635FF35 0000FFFF
	s_and_b32 s55, s55, 0xffff                                 // 00000000258C: 8637FF37 0000FFFF
	s_mov_b32 s80, 0xfffffff                                   // 000000002594: BED000FF 0FFFFFFF
	s_cmp_eq_u32 s5, 0                                         // 00000000259C: BF068005
	s_cbranch_scc0 label_007B                                  // 0000000025A0: BF840012
	s_cmp_eq_u32 s2, 0                                         // 0000000025A4: BF068002
	s_cbranch_scc0 label_007B                                  // 0000000025A8: BF840010
	s_atomic_inc s80, s[40:41], s93                            // 0000000025AC: C22C1414 0000005D
	s_atomic_inc s80, s[42:43], s93                            // 0000000025B4: C22C1415 0000005D
	s_atomic_inc s80, s[44:45], s93                            // 0000000025BC: C22C1416 0000005D
	s_atomic_inc s80, s[46:47], s93                            // 0000000025C4: C22C1417 0000005D
	s_atomic_inc s80, s[48:49], s93                            // 0000000025CC: C22C1418 0000005D
	s_atomic_inc s80, s[50:51], s93                            // 0000000025D4: C22C1419 0000005D
	s_atomic_inc s80, s[52:53], s93                            // 0000000025DC: C22C141A 0000005D
	s_atomic_inc s80, s[54:55], s93                            // 0000000025E4: C22C141B 0000005D

00000000000025ec <label_007B>:
	s_mul_i32 s84, 2, s62                                      // 0000000025EC: 92543E82
	s_mul_i32 s84, s2, s84                                     // 0000000025F0: 92545402
	s_mul_i32 s85, 0x400, s5                                   // 0000000025F4: 925505FF 00000400
	s_mul_i32 s86, s61, s60                                    // 0000000025FC: 92563C3D
	v_lshlrev_b32_e32 v220, 4, v0                              // 000000002600: 25B80084
	v_lshlrev_b32_e32 v224, 4, v0                              // 000000002604: 25C00084
	v_lshlrev_b32_e32 v234, 2, v0                              // 000000002608: 25D40082
	v_add_u32_e64 v224, v224, s85                              // 00000000260C: D13400E0 0000ABE0
	v_add_u32_e32 v220, s84, v220                              // 000000002614: 69B9B854
	v_add_u32_e32 v220, s85, v220                              // 000000002618: 69B9B855
	v_add_u32_e32 v220, s86, v220                              // 00000000261C: 69B9B856
	s_mov_b32 s85, 0x1000                                      // 000000002620: BED500FF 00001000
	v_add_u32_e64 v221, v220, s85                              // 000000002628: D13400DD 0000ABDC
	v_add_u32_e64 v225, v224, s85                              // 000000002630: D13400E1 0000ABE0
	v_add_u32_e64 v222, v221, s85                              // 000000002638: D13400DE 0000ABDD
	v_add_u32_e64 v226, v225, s85                              // 000000002640: D13400E2 0000ABE1
	v_add_u32_e64 v223, v222, s85                              // 000000002648: D13400DF 0000ABDE
	v_add_u32_e64 v227, v226, s85                              // 000000002650: D13400E3 0000ABE2
	s_mul_i32 s84, 0x100, s5                                   // 000000002658: 925405FF 00000100
	v_add_u32_e64 v234, v234, s84                              // 000000002660: D13400EA 0000A9EA
	s_and_b32 s17, s17, 0xffff                                 // 000000002668: 8611FF11 0000FFFF
	s_or_b32 s17, s17, 0x40000                                 // 000000002670: 8711FF11 00040000
	s_mov_b32 s18, 0x80000000                                  // 000000002678: BE9200FF 80000000
	s_mov_b32 s19, 0x20000                                     // 000000002680: BE9300FF 00020000
	buffer_load_dwordx4 v[196:199], v220, s[16:19], 0 offen    // 000000002688: E05C1000 8004C4DC
	buffer_load_dwordx4 v[200:203], v221, s[16:19], 0 offen    // 000000002690: E05C1000 8004C8DD
	buffer_load_dwordx4 v[204:207], v222, s[16:19], 0 offen    // 000000002698: E05C1000 8004CCDE
	buffer_load_dwordx4 v[208:211], v223, s[16:19], 0 offen    // 0000000026A0: E05C1000 8004D0DF
	v_lshlrev_b32_e32 v229, 2, v0                              // 0000000026A8: 25CA0082
	s_mul_i32 s84, 0x100, s5                                   // 0000000026AC: 925405FF 00000100
	v_add_u32_e64 v229, v229, s84                              // 0000000026B4: D13400E5 0000A9E5
	v_lshlrev_b32_e32 v228, 2, v0                              // 0000000026BC: 25C80082
	v_and_b32_e64 v228, v228, 63                               // 0000000026C0: D11300E4 00017FE4
	s_mov_b32 s61, s20                                         // 0000000026C8: BEBD0014
	s_mov_b32 s62, s21                                         // 0000000026CC: BEBE0015
	s_mov_b32 s10, 0x80000000                                  // 0000000026D0: BE8A00FF 80000000
	s_mov_b32 s11, 0x20000                                     // 0000000026D8: BE8B00FF 00020000
	s_mov_b32 s14, 0x80000000                                  // 0000000026E0: BE8E00FF 80000000
	s_mov_b32 s15, 0x20000                                     // 0000000026E8: BE8F00FF 00020000
	s_mov_b32 s18, 0x80000000                                  // 0000000026F0: BE9200FF 80000000
	s_mov_b32 s19, 0x20000                                     // 0000000026F8: BE9300FF 00020000
	s_mov_b32 s22, 0x80000000                                  // 000000002700: BE9600FF 80000000
	s_mov_b32 s23, 0x20000                                     // 000000002708: BE9700FF 00020000
	s_mov_b32 s26, 0x80000000                                  // 000000002710: BE9A00FF 80000000
	s_mov_b32 s27, 0x20000                                     // 000000002718: BE9B00FF 00020000
	s_mov_b32 s30, 0x80000000                                  // 000000002720: BE9E00FF 80000000
	s_mov_b32 s31, 0x20000                                     // 000000002728: BE9F00FF 00020000
	s_mov_b32 s34, 0x80000000                                  // 000000002730: BEA200FF 80000000
	s_mov_b32 s35, 0x20000                                     // 000000002738: BEA300FF 00020000
	s_mov_b32 s38, 0x80000000                                  // 000000002740: BEA600FF 80000000
	s_mov_b32 s39, 0x20000                                     // 000000002748: BEA700FF 00020000
	s_mul_i32 s94, s2, 8                                       // 000000002750: 925E8802
	s_mov_b32 s81, 0xff                                        // 000000002754: BED100FF 000000FF
	s_mov_b32 s82, 1                                           // 00000000275C: BED20081
	s_mov_b32 s83, 0x7060302                                   // 000000002760: BED300FF 07060302
	v_mov_b32_e32 v213, 0xffff0000                             // 000000002768: 7FAA02FF FFFF0000
	v_mov_b32_e32 v214, 0x7fff0000                             // 000000002770: 7FAC02FF 7FFF0000
	v_mov_b32_e32 v215, 0x7fff                                 // 000000002778: 7FAE02FF 00007FFF
	s_mov_b32 s64, 0                                           // 000000002780: BEC00080
	s_mov_b32 s72, 0                                           // 000000002784: BEC80080
	s_mov_b32 s65, 0                                           // 000000002788: BEC10080
	s_mov_b32 s73, 0                                           // 00000000278C: BEC90080
	s_mov_b32 s66, 0                                           // 000000002790: BEC20080
	s_mov_b32 s74, 0                                           // 000000002794: BECA0080
	s_mov_b32 s67, 0                                           // 000000002798: BEC30080
	s_mov_b32 s75, 0                                           // 00000000279C: BECB0080
	s_mov_b32 s68, 0                                           // 0000000027A0: BEC40080
	s_mov_b32 s76, 0                                           // 0000000027A4: BECC0080
	s_mov_b32 s69, 0                                           // 0000000027A8: BEC50080
	s_mov_b32 s77, 0                                           // 0000000027AC: BECD0080
	s_mov_b32 s70, 0                                           // 0000000027B0: BEC60080
	s_mov_b32 s78, 0                                           // 0000000027B4: BECE0080
	s_mov_b32 s71, 0                                           // 0000000027B8: BEC70080
	s_mov_b32 s79, 0                                           // 0000000027BC: BECF0080
	v_mov_b32_e32 v230, 0x39000000                             // 0000000027C0: 7FCC02FF 39000000
	v_mov_b32_e32 v4, 0                                        // 0000000027C8: 7E080280
	v_mov_b32_e32 v5, 0                                        // 0000000027CC: 7E0A0280
	v_mov_b32_e32 v6, 0                                        // 0000000027D0: 7E0C0280
	v_mov_b32_e32 v7, 0                                        // 0000000027D4: 7E0E0280
	v_mov_b32_e32 v8, 0                                        // 0000000027D8: 7E100280
	v_mov_b32_e32 v9, 0                                        // 0000000027DC: 7E120280
	v_mov_b32_e32 v10, 0                                       // 0000000027E0: 7E140280
	v_mov_b32_e32 v11, 0                                       // 0000000027E4: 7E160280
	v_mov_b32_e32 v12, 0                                       // 0000000027E8: 7E180280
	v_mov_b32_e32 v13, 0                                       // 0000000027EC: 7E1A0280
	v_mov_b32_e32 v14, 0                                       // 0000000027F0: 7E1C0280
	v_mov_b32_e32 v15, 0                                       // 0000000027F4: 7E1E0280
	v_mov_b32_e32 v16, 0                                       // 0000000027F8: 7E200280
	v_mov_b32_e32 v17, 0                                       // 0000000027FC: 7E220280
	v_mov_b32_e32 v18, 0                                       // 000000002800: 7E240280
	v_mov_b32_e32 v19, 0                                       // 000000002804: 7E260280
	v_mov_b32_e32 v20, 0                                       // 000000002808: 7E280280
	v_mov_b32_e32 v21, 0                                       // 00000000280C: 7E2A0280
	v_mov_b32_e32 v22, 0                                       // 000000002810: 7E2C0280
	v_mov_b32_e32 v23, 0                                       // 000000002814: 7E2E0280
	v_mov_b32_e32 v24, 0                                       // 000000002818: 7E300280
	v_mov_b32_e32 v25, 0                                       // 00000000281C: 7E320280
	v_mov_b32_e32 v26, 0                                       // 000000002820: 7E340280
	v_mov_b32_e32 v27, 0                                       // 000000002824: 7E360280
	v_mov_b32_e32 v28, 0                                       // 000000002828: 7E380280
	v_mov_b32_e32 v29, 0                                       // 00000000282C: 7E3A0280
	v_mov_b32_e32 v30, 0                                       // 000000002830: 7E3C0280
	v_mov_b32_e32 v31, 0                                       // 000000002834: 7E3E0280
	v_mov_b32_e32 v32, 0                                       // 000000002838: 7E400280
	v_mov_b32_e32 v33, 0                                       // 00000000283C: 7E420280
	v_mov_b32_e32 v34, 0                                       // 000000002840: 7E440280
	v_mov_b32_e32 v35, 0                                       // 000000002844: 7E460280
	s_mov_b32 s56, s40                                         // 000000002848: BEB80028
	s_mov_b32 s57, s41                                         // 00000000284C: BEB90029
	s_cmp_eq_u32 s60, 0                                        // 000000002850: BF06803C
	s_cselect_b32 s56, s40, s56                                // 000000002854: 85383828
	s_cselect_b32 s57, s41, s57                                // 000000002858: 85393929
	s_cmp_eq_u32 s60, 1                                        // 00000000285C: BF06813C
	s_cselect_b32 s56, s42, s56                                // 000000002860: 8538382A
	s_cselect_b32 s57, s43, s57                                // 000000002864: 8539392B
	s_cmp_eq_u32 s60, 2                                        // 000000002868: BF06823C
	s_cselect_b32 s56, s44, s56                                // 00000000286C: 8538382C
	s_cselect_b32 s57, s45, s57                                // 000000002870: 8539392D
	s_cmp_eq_u32 s60, 3                                        // 000000002874: BF06833C
	s_cselect_b32 s56, s46, s56                                // 000000002878: 8538382E
	s_cselect_b32 s57, s47, s57                                // 00000000287C: 8539392F
	s_cmp_eq_u32 s60, 4                                        // 000000002880: BF06843C
	s_cselect_b32 s56, s48, s56                                // 000000002884: 85383830
	s_cselect_b32 s57, s49, s57                                // 000000002888: 85393931
	s_cmp_eq_u32 s60, 5                                        // 00000000288C: BF06853C
	s_cselect_b32 s56, s50, s56                                // 000000002890: 85383832
	s_cselect_b32 s57, s51, s57                                // 000000002894: 85393933
	s_cmp_eq_u32 s60, 6                                        // 000000002898: BF06863C
	s_cselect_b32 s56, s52, s56                                // 00000000289C: 85383834
	s_cselect_b32 s57, s53, s57                                // 0000000028A0: 85393935
	s_cmp_eq_u32 s60, 7                                        // 0000000028A4: BF06873C
	s_cselect_b32 s56, s54, s56                                // 0000000028A8: 85383836
	s_cselect_b32 s57, s55, s57                                // 0000000028AC: 85393937
	s_waitcnt vmcnt(4)                                         // 0000000028B0: BF8C0F74
	ds_read_b32 v235, v234                                     // 0000000028B4: D86C0000 EB0000EA
	s_waitcnt lgkmcnt(0)                                       // 0000000028BC: BF8CC07F
	v_readlane_b32 s9, v235, 1                                 // 0000000028C0: D2890009 000103EB
	v_readlane_b32 s8, v235, 0                                 // 0000000028C8: D2890008 000101EB
	s_and_b32 s9, s9, 0xffff                                   // 0000000028D0: 8609FF09 0000FFFF
	s_or_b32 s9, s9, 0x40000                                   // 0000000028D8: 8709FF09 00040000
	v_readlane_b32 s13, v235, 3                                // 0000000028E0: D289000D 000107EB
	v_readlane_b32 s12, v235, 2                                // 0000000028E8: D289000C 000105EB
	s_and_b32 s13, s13, 0xffff                                 // 0000000028F0: 860DFF0D 0000FFFF
	s_or_b32 s13, s13, 0x40000                                 // 0000000028F8: 870DFF0D 00040000
	v_readlane_b32 s17, v235, 5                                // 000000002900: D2890011 00010BEB
	v_readlane_b32 s16, v235, 4                                // 000000002908: D2890010 000109EB
	s_and_b32 s17, s17, 0xffff                                 // 000000002910: 8611FF11 0000FFFF
	s_or_b32 s17, s17, 0x40000                                 // 000000002918: 8711FF11 00040000
	v_readlane_b32 s21, v235, 7                                // 000000002920: D2890015 00010FEB
	v_readlane_b32 s20, v235, 6                                // 000000002928: D2890014 00010DEB
	s_and_b32 s21, s21, 0xffff                                 // 000000002930: 8615FF15 0000FFFF
	s_or_b32 s21, s21, 0x40000                                 // 000000002938: 8715FF15 00040000
	v_readlane_b32 s25, v235, 9                                // 000000002940: D2890019 000113EB
	v_readlane_b32 s24, v235, 8                                // 000000002948: D2890018 000111EB
	s_and_b32 s25, s25, 0xffff                                 // 000000002950: 8619FF19 0000FFFF
	s_or_b32 s25, s25, 0x40000                                 // 000000002958: 8719FF19 00040000
	v_readlane_b32 s29, v235, 11                               // 000000002960: D289001D 000117EB
	v_readlane_b32 s28, v235, 10                               // 000000002968: D289001C 000115EB
	s_and_b32 s29, s29, 0xffff                                 // 000000002970: 861DFF1D 0000FFFF
	s_or_b32 s29, s29, 0x40000                                 // 000000002978: 871DFF1D 00040000
	v_readlane_b32 s33, v235, 13                               // 000000002980: D2890021 00011BEB
	v_readlane_b32 s32, v235, 12                               // 000000002988: D2890020 000119EB
	s_and_b32 s33, s33, 0xffff                                 // 000000002990: 8621FF21 0000FFFF
	s_or_b32 s33, s33, 0x40000                                 // 000000002998: 8721FF21 00040000
	v_readlane_b32 s37, v235, 15                               // 0000000029A0: D2890025 00011FEB
	v_readlane_b32 s36, v235, 14                               // 0000000029A8: D2890024 00011DEB
	s_and_b32 s37, s37, 0xffff                                 // 0000000029B0: 8625FF25 0000FFFF
	s_or_b32 s37, s37, 0x40000                                 // 0000000029B8: 8725FF25 00040000

00000000000029c0 <label_0170>:
	s_cmp_eq_u32 s81, 0                                        // 0000000029C0: BF068051
	s_cbranch_scc1 label_0222                                  // 0000000029C4: BF8500B0
	s_mov_b32 s7, 0                                            // 0000000029C8: BE870080

00000000000029cc <label_0173>:
	s_nop 15                                                   // 0000000029CC: BF80000F
	s_addk_i32 s7, 0x1                                         // 0000000029D0: B7070001
	s_cmp_lt_i32 s7, s6                                        // 0000000029D4: BF040607
	s_cbranch_scc0 label_0178                                  // 0000000029D8: BF840001
	s_branch label_0173                                        // 0000000029DC: BF82FFFB

00000000000029e0 <label_0178>:
	s_cmp_gt_u32 s64, 0                                        // 0000000029E0: BF088040
	s_cbranch_scc1 label_017D                                  // 0000000029E4: BF850003
	s_mul_i32 s84, s92, 0                                      // 0000000029E8: 9254805C
	s_load_dword s64, s[56:57], s84 glc                        // 0000000029EC: C001101C 00000054

00000000000029f4 <label_017D>:
	s_cmp_gt_u32 s65, 0                                        // 0000000029F4: BF088041
	s_cbranch_scc1 label_0182                                  // 0000000029F8: BF850003
	s_mul_i32 s84, s92, 1                                      // 0000000029FC: 9254815C
	s_load_dword s65, s[56:57], s84 glc                        // 000000002A00: C001105C 00000054

0000000000002a08 <label_0182>:
	s_cmp_gt_u32 s66, 0                                        // 000000002A08: BF088042
	s_cbranch_scc1 label_0187                                  // 000000002A0C: BF850003
	s_mul_i32 s84, s92, 2                                      // 000000002A10: 9254825C
	s_load_dword s66, s[56:57], s84 glc                        // 000000002A14: C001109C 00000054

0000000000002a1c <label_0187>:
	s_cmp_gt_u32 s67, 0                                        // 000000002A1C: BF088043
	s_cbranch_scc1 label_018C                                  // 000000002A20: BF850003
	s_mul_i32 s84, s92, 3                                      // 000000002A24: 9254835C
	s_load_dword s67, s[56:57], s84 glc                        // 000000002A28: C00110DC 00000054

0000000000002a30 <label_018C>:
	s_cmp_gt_u32 s68, 0                                        // 000000002A30: BF088044
	s_cbranch_scc1 label_0191                                  // 000000002A34: BF850003
	s_mul_i32 s84, s92, 4                                      // 000000002A38: 9254845C
	s_load_dword s68, s[56:57], s84 glc                        // 000000002A3C: C001111C 00000054

0000000000002a44 <label_0191>:
	s_cmp_gt_u32 s69, 0                                        // 000000002A44: BF088045
	s_cbranch_scc1 label_0196                                  // 000000002A48: BF850003
	s_mul_i32 s84, s92, 5                                      // 000000002A4C: 9254855C
	s_load_dword s69, s[56:57], s84 glc                        // 000000002A50: C001115C 00000054

0000000000002a58 <label_0196>:
	s_cmp_gt_u32 s70, 0                                        // 000000002A58: BF088046
	s_cbranch_scc1 label_019B                                  // 000000002A5C: BF850003
	s_mul_i32 s84, s92, 6                                      // 000000002A60: 9254865C
	s_load_dword s70, s[56:57], s84 glc                        // 000000002A64: C001119C 00000054

0000000000002a6c <label_019B>:
	s_cmp_gt_u32 s71, 0                                        // 000000002A6C: BF088047
	s_cbranch_scc1 label_01A0                                  // 000000002A70: BF850003
	s_mul_i32 s84, s92, 7                                      // 000000002A74: 9254875C
	s_load_dword s71, s[56:57], s84 glc                        // 000000002A78: C00111DC 00000054

0000000000002a80 <label_01A0>:
	s_waitcnt lgkmcnt(0)                                       // 000000002A80: BF8CC07F
	s_lshl_b32 s84, s82, 0                                     // 000000002A84: 8E548052
	s_nor_b32 s85, s84, 0                                      // 000000002A88: 8C558054
	s_and_b32 s86, s84, s81                                    // 000000002A8C: 86565154
	s_cmp_eq_u32 s86, 0                                        // 000000002A90: BF068056
	s_cbranch_scc1 label_01B1                                  // 000000002A94: BF85000B
	s_cmp_gt_u32 s64, 0                                        // 000000002A98: BF088040
	s_cbranch_scc0 label_01B1                                  // 000000002A9C: BF840009
	s_and_b32 s81, s85, s81                                    // 000000002AA0: 86515155
	buffer_load_dwordx4 v[36:39], v220, s[8:11], 0 offen       // 000000002AA4: E05C1000 800224DC
	buffer_load_dwordx4 v[40:43], v221, s[8:11], 0 offen       // 000000002AAC: E05C1000 800228DD
	buffer_load_dwordx4 v[44:47], v222, s[8:11], 0 offen       // 000000002AB4: E05C1000 80022CDE
	buffer_load_dwordx4 v[48:51], v223, s[8:11], 0 offen       // 000000002ABC: E05C1000 800230DF

0000000000002ac4 <label_01B1>:
	s_lshl_b32 s84, s82, 1                                     // 000000002AC4: 8E548152
	s_nor_b32 s85, s84, 0                                      // 000000002AC8: 8C558054
	s_and_b32 s86, s84, s81                                    // 000000002ACC: 86565154
	s_cmp_eq_u32 s86, 0                                        // 000000002AD0: BF068056
	s_cbranch_scc1 label_01C1                                  // 000000002AD4: BF85000B
	s_cmp_gt_u32 s65, 0                                        // 000000002AD8: BF088041
	s_cbranch_scc0 label_01C1                                  // 000000002ADC: BF840009
	s_and_b32 s81, s85, s81                                    // 000000002AE0: 86515155
	buffer_load_dwordx4 v[52:55], v220, s[12:15], 0 offen      // 000000002AE4: E05C1000 800334DC
	buffer_load_dwordx4 v[56:59], v221, s[12:15], 0 offen      // 000000002AEC: E05C1000 800338DD
	buffer_load_dwordx4 v[60:63], v222, s[12:15], 0 offen      // 000000002AF4: E05C1000 80033CDE
	buffer_load_dwordx4 v[64:67], v223, s[12:15], 0 offen      // 000000002AFC: E05C1000 800340DF

0000000000002b04 <label_01C1>:
	s_lshl_b32 s84, s82, 2                                     // 000000002B04: 8E548252
	s_nor_b32 s85, s84, 0                                      // 000000002B08: 8C558054
	s_and_b32 s86, s84, s81                                    // 000000002B0C: 86565154
	s_cmp_eq_u32 s86, 0                                        // 000000002B10: BF068056
	s_cbranch_scc1 label_01D1                                  // 000000002B14: BF85000B
	s_cmp_gt_u32 s66, 0                                        // 000000002B18: BF088042
	s_cbranch_scc0 label_01D1                                  // 000000002B1C: BF840009
	s_and_b32 s81, s85, s81                                    // 000000002B20: 86515155
	buffer_load_dwordx4 v[68:71], v220, s[16:19], 0 offen      // 000000002B24: E05C1000 800444DC
	buffer_load_dwordx4 v[72:75], v221, s[16:19], 0 offen      // 000000002B2C: E05C1000 800448DD
	buffer_load_dwordx4 v[76:79], v222, s[16:19], 0 offen      // 000000002B34: E05C1000 80044CDE
	buffer_load_dwordx4 v[80:83], v223, s[16:19], 0 offen      // 000000002B3C: E05C1000 800450DF

0000000000002b44 <label_01D1>:
	s_lshl_b32 s84, s82, 3                                     // 000000002B44: 8E548352
	s_nor_b32 s85, s84, 0                                      // 000000002B48: 8C558054
	s_and_b32 s86, s84, s81                                    // 000000002B4C: 86565154
	s_cmp_eq_u32 s86, 0                                        // 000000002B50: BF068056
	s_cbranch_scc1 label_01E1                                  // 000000002B54: BF85000B
	s_cmp_gt_u32 s67, 0                                        // 000000002B58: BF088043
	s_cbranch_scc0 label_01E1                                  // 000000002B5C: BF840009
	s_and_b32 s81, s85, s81                                    // 000000002B60: 86515155
	buffer_load_dwordx4 v[84:87], v220, s[20:23], 0 offen      // 000000002B64: E05C1000 800554DC
	buffer_load_dwordx4 v[88:91], v221, s[20:23], 0 offen      // 000000002B6C: E05C1000 800558DD
	buffer_load_dwordx4 v[92:95], v222, s[20:23], 0 offen      // 000000002B74: E05C1000 80055CDE
	buffer_load_dwordx4 v[96:99], v223, s[20:23], 0 offen      // 000000002B7C: E05C1000 800560DF

0000000000002b84 <label_01E1>:
	s_lshl_b32 s84, s82, 4                                     // 000000002B84: 8E548452
	s_nor_b32 s85, s84, 0                                      // 000000002B88: 8C558054
	s_and_b32 s86, s84, s81                                    // 000000002B8C: 86565154
	s_cmp_eq_u32 s86, 0                                        // 000000002B90: BF068056
	s_cbranch_scc1 label_01F1                                  // 000000002B94: BF85000B
	s_cmp_gt_u32 s68, 0                                        // 000000002B98: BF088044
	s_cbranch_scc0 label_01F1                                  // 000000002B9C: BF840009
	s_and_b32 s81, s85, s81                                    // 000000002BA0: 86515155
	buffer_load_dwordx4 v[100:103], v220, s[24:27], 0 offen    // 000000002BA4: E05C1000 800664DC
	buffer_load_dwordx4 v[104:107], v221, s[24:27], 0 offen    // 000000002BAC: E05C1000 800668DD
	buffer_load_dwordx4 v[108:111], v222, s[24:27], 0 offen    // 000000002BB4: E05C1000 80066CDE
	buffer_load_dwordx4 v[112:115], v223, s[24:27], 0 offen    // 000000002BBC: E05C1000 800670DF

0000000000002bc4 <label_01F1>:
	s_lshl_b32 s84, s82, 5                                     // 000000002BC4: 8E548552
	s_nor_b32 s85, s84, 0                                      // 000000002BC8: 8C558054
	s_and_b32 s86, s84, s81                                    // 000000002BCC: 86565154
	s_cmp_eq_u32 s86, 0                                        // 000000002BD0: BF068056
	s_cbranch_scc1 label_0201                                  // 000000002BD4: BF85000B
	s_cmp_gt_u32 s69, 0                                        // 000000002BD8: BF088045
	s_cbranch_scc0 label_0201                                  // 000000002BDC: BF840009
	s_and_b32 s81, s85, s81                                    // 000000002BE0: 86515155
	buffer_load_dwordx4 v[116:119], v220, s[28:31], 0 offen    // 000000002BE4: E05C1000 800774DC
	buffer_load_dwordx4 v[120:123], v221, s[28:31], 0 offen    // 000000002BEC: E05C1000 800778DD
	buffer_load_dwordx4 v[124:127], v222, s[28:31], 0 offen    // 000000002BF4: E05C1000 80077CDE
	buffer_load_dwordx4 v[128:131], v223, s[28:31], 0 offen    // 000000002BFC: E05C1000 800780DF

0000000000002c04 <label_0201>:
	s_lshl_b32 s84, s82, 6                                     // 000000002C04: 8E548652
	s_nor_b32 s85, s84, 0                                      // 000000002C08: 8C558054
	s_and_b32 s86, s84, s81                                    // 000000002C0C: 86565154
	s_cmp_eq_u32 s86, 0                                        // 000000002C10: BF068056
	s_cbranch_scc1 label_0211                                  // 000000002C14: BF85000B
	s_cmp_gt_u32 s70, 0                                        // 000000002C18: BF088046
	s_cbranch_scc0 label_0211                                  // 000000002C1C: BF840009
	s_and_b32 s81, s85, s81                                    // 000000002C20: 86515155
	buffer_load_dwordx4 v[132:135], v220, s[32:35], 0 offen    // 000000002C24: E05C1000 800884DC
	buffer_load_dwordx4 v[136:139], v221, s[32:35], 0 offen    // 000000002C2C: E05C1000 800888DD
	buffer_load_dwordx4 v[140:143], v222, s[32:35], 0 offen    // 000000002C34: E05C1000 80088CDE
	buffer_load_dwordx4 v[144:147], v223, s[32:35], 0 offen    // 000000002C3C: E05C1000 800890DF

0000000000002c44 <label_0211>:
	s_lshl_b32 s84, s82, 7                                     // 000000002C44: 8E548752
	s_nor_b32 s85, s84, 0                                      // 000000002C48: 8C558054
	s_and_b32 s86, s84, s81                                    // 000000002C4C: 86565154
	s_cmp_eq_u32 s86, 0                                        // 000000002C50: BF068056
	s_cbranch_scc1 label_0221                                  // 000000002C54: BF85000B
	s_cmp_gt_u32 s71, 0                                        // 000000002C58: BF088047
	s_cbranch_scc0 label_0221                                  // 000000002C5C: BF840009
	s_and_b32 s81, s85, s81                                    // 000000002C60: 86515155
	buffer_load_dwordx4 v[148:151], v220, s[36:39], 0 offen    // 000000002C64: E05C1000 800994DC
	buffer_load_dwordx4 v[152:155], v221, s[36:39], 0 offen    // 000000002C6C: E05C1000 800998DD
	buffer_load_dwordx4 v[156:159], v222, s[36:39], 0 offen    // 000000002C74: E05C1000 80099CDE
	buffer_load_dwordx4 v[160:163], v223, s[36:39], 0 offen    // 000000002C7C: E05C1000 8009A0DF

0000000000002c84 <label_0221>:
	s_branch label_0170                                        // 000000002C84: BF82FF4E

0000000000002c88 <label_0222>:
	s_waitcnt vmcnt(0) expcnt(0) lgkmcnt(0)                    // 000000002C88: BF8C0000
	v_and_b32_e32 v216, 0xffff0000, v36                        // 000000002C8C: 27B048FF FFFF0000
	v_lshlrev_b32_e32 v36, 16, v36                             // 000000002C94: 24484890
	v_and_b32_e32 v217, 0xffff0000, v37                        // 000000002C98: 27B24AFF FFFF0000
	v_lshlrev_b32_e32 v37, 16, v37                             // 000000002CA0: 244A4A90
	v_and_b32_e32 v218, 0xffff0000, v38                        // 000000002CA4: 27B44CFF FFFF0000
	v_lshlrev_b32_e32 v38, 16, v38                             // 000000002CAC: 244C4C90
	v_and_b32_e32 v219, 0xffff0000, v39                        // 000000002CB0: 27B64EFF FFFF0000
	v_lshlrev_b32_e32 v39, 16, v39                             // 000000002CB8: 244E4E90
	v_pk_add_f32 v[4:5], v[4:5], v[36:37]                      // 000000002CBC: D3B24004 18024904
	v_pk_add_f32 v[6:7], v[6:7], v[38:39]                      // 000000002CC4: D3B24006 18024D06
	v_pk_add_f32 v[20:21], v[20:21], v[216:217]                // 000000002CCC: D3B24014 1803B114
	v_pk_add_f32 v[22:23], v[22:23], v[218:219]                // 000000002CD4: D3B24016 1803B516
	v_and_b32_e32 v216, 0xffff0000, v40                        // 000000002CDC: 27B050FF FFFF0000
	v_lshlrev_b32_e32 v40, 16, v40                             // 000000002CE4: 24505090
	v_and_b32_e32 v217, 0xffff0000, v41                        // 000000002CE8: 27B252FF FFFF0000
	v_lshlrev_b32_e32 v41, 16, v41                             // 000000002CF0: 24525290
	v_and_b32_e32 v218, 0xffff0000, v42                        // 000000002CF4: 27B454FF FFFF0000
	v_lshlrev_b32_e32 v42, 16, v42                             // 000000002CFC: 24545490
	v_and_b32_e32 v219, 0xffff0000, v43                        // 000000002D00: 27B656FF FFFF0000
	v_lshlrev_b32_e32 v43, 16, v43                             // 000000002D08: 24565690
	v_pk_add_f32 v[8:9], v[8:9], v[40:41]                      // 000000002D0C: D3B24008 18025108
	v_pk_add_f32 v[10:11], v[10:11], v[42:43]                  // 000000002D14: D3B2400A 1802550A
	v_pk_add_f32 v[24:25], v[24:25], v[216:217]                // 000000002D1C: D3B24018 1803B118
	v_pk_add_f32 v[26:27], v[26:27], v[218:219]                // 000000002D24: D3B2401A 1803B51A
	v_and_b32_e32 v216, 0xffff0000, v44                        // 000000002D2C: 27B058FF FFFF0000
	v_lshlrev_b32_e32 v44, 16, v44                             // 000000002D34: 24585890
	v_and_b32_e32 v217, 0xffff0000, v45                        // 000000002D38: 27B25AFF FFFF0000
	v_lshlrev_b32_e32 v45, 16, v45                             // 000000002D40: 245A5A90
	v_and_b32_e32 v218, 0xffff0000, v46                        // 000000002D44: 27B45CFF FFFF0000
	v_lshlrev_b32_e32 v46, 16, v46                             // 000000002D4C: 245C5C90
	v_and_b32_e32 v219, 0xffff0000, v47                        // 000000002D50: 27B65EFF FFFF0000
	v_lshlrev_b32_e32 v47, 16, v47                             // 000000002D58: 245E5E90
	v_pk_add_f32 v[12:13], v[12:13], v[44:45]                  // 000000002D5C: D3B2400C 1802590C
	v_pk_add_f32 v[14:15], v[14:15], v[46:47]                  // 000000002D64: D3B2400E 18025D0E
	v_pk_add_f32 v[28:29], v[28:29], v[216:217]                // 000000002D6C: D3B2401C 1803B11C
	v_pk_add_f32 v[30:31], v[30:31], v[218:219]                // 000000002D74: D3B2401E 1803B51E
	v_and_b32_e32 v216, 0xffff0000, v48                        // 000000002D7C: 27B060FF FFFF0000
	v_lshlrev_b32_e32 v48, 16, v48                             // 000000002D84: 24606090
	v_and_b32_e32 v217, 0xffff0000, v49                        // 000000002D88: 27B262FF FFFF0000
	v_lshlrev_b32_e32 v49, 16, v49                             // 000000002D90: 24626290
	v_and_b32_e32 v218, 0xffff0000, v50                        // 000000002D94: 27B464FF FFFF0000
	v_lshlrev_b32_e32 v50, 16, v50                             // 000000002D9C: 24646490
	v_and_b32_e32 v219, 0xffff0000, v51                        // 000000002DA0: 27B666FF FFFF0000
	v_lshlrev_b32_e32 v51, 16, v51                             // 000000002DA8: 24666690
	v_pk_add_f32 v[16:17], v[16:17], v[48:49]                  // 000000002DAC: D3B24010 18026110
	v_pk_add_f32 v[18:19], v[18:19], v[50:51]                  // 000000002DB4: D3B24012 18026512
	v_pk_add_f32 v[32:33], v[32:33], v[216:217]                // 000000002DBC: D3B24020 1803B120
	v_pk_add_f32 v[34:35], v[34:35], v[218:219]                // 000000002DC4: D3B24022 1803B522
	s_mov_b32 s8, s58                                          // 000000002DCC: BE88003A
	s_mov_b32 s9, s59                                          // 000000002DD0: BE89003B
	buffer_load_dwordx4 v[164:167], v224, s[8:11], 0 offen     // 000000002DD4: E05C1000 8002A4E0
	s_mov_b32 s12, s61                                         // 000000002DDC: BE8C003D
	s_mov_b32 s13, s62                                         // 000000002DE0: BE8D003E
	buffer_load_dwordx4 v[180:183], v224, s[12:15], 0 offen    // 000000002DE4: E05C1000 8003B4E0
	v_and_b32_e32 v216, 0xffff0000, v52                        // 000000002DEC: 27B068FF FFFF0000
	v_lshlrev_b32_e32 v52, 16, v52                             // 000000002DF4: 24686890
	v_and_b32_e32 v217, 0xffff0000, v53                        // 000000002DF8: 27B26AFF FFFF0000
	v_lshlrev_b32_e32 v53, 16, v53                             // 000000002E00: 246A6A90
	v_and_b32_e32 v218, 0xffff0000, v54                        // 000000002E04: 27B46CFF FFFF0000
	v_lshlrev_b32_e32 v54, 16, v54                             // 000000002E0C: 246C6C90
	v_and_b32_e32 v219, 0xffff0000, v55                        // 000000002E10: 27B66EFF FFFF0000
	v_lshlrev_b32_e32 v55, 16, v55                             // 000000002E18: 246E6E90
	v_pk_add_f32 v[4:5], v[4:5], v[52:53]                      // 000000002E1C: D3B24004 18026904
	v_pk_add_f32 v[6:7], v[6:7], v[54:55]                      // 000000002E24: D3B24006 18026D06
	v_pk_add_f32 v[20:21], v[20:21], v[216:217]                // 000000002E2C: D3B24014 1803B114
	v_pk_add_f32 v[22:23], v[22:23], v[218:219]                // 000000002E34: D3B24016 1803B516
	v_and_b32_e32 v216, 0xffff0000, v56                        // 000000002E3C: 27B070FF FFFF0000
	v_lshlrev_b32_e32 v56, 16, v56                             // 000000002E44: 24707090
	v_and_b32_e32 v217, 0xffff0000, v57                        // 000000002E48: 27B272FF FFFF0000
	v_lshlrev_b32_e32 v57, 16, v57                             // 000000002E50: 24727290
	v_and_b32_e32 v218, 0xffff0000, v58                        // 000000002E54: 27B474FF FFFF0000
	v_lshlrev_b32_e32 v58, 16, v58                             // 000000002E5C: 24747490
	v_and_b32_e32 v219, 0xffff0000, v59                        // 000000002E60: 27B676FF FFFF0000
	v_lshlrev_b32_e32 v59, 16, v59                             // 000000002E68: 24767690
	v_pk_add_f32 v[8:9], v[8:9], v[56:57]                      // 000000002E6C: D3B24008 18027108
	v_pk_add_f32 v[10:11], v[10:11], v[58:59]                  // 000000002E74: D3B2400A 1802750A
	v_pk_add_f32 v[24:25], v[24:25], v[216:217]                // 000000002E7C: D3B24018 1803B118
	v_pk_add_f32 v[26:27], v[26:27], v[218:219]                // 000000002E84: D3B2401A 1803B51A
	v_and_b32_e32 v216, 0xffff0000, v60                        // 000000002E8C: 27B078FF FFFF0000
	v_lshlrev_b32_e32 v60, 16, v60                             // 000000002E94: 24787890
	v_and_b32_e32 v217, 0xffff0000, v61                        // 000000002E98: 27B27AFF FFFF0000
	v_lshlrev_b32_e32 v61, 16, v61                             // 000000002EA0: 247A7A90
	v_and_b32_e32 v218, 0xffff0000, v62                        // 000000002EA4: 27B47CFF FFFF0000
	v_lshlrev_b32_e32 v62, 16, v62                             // 000000002EAC: 247C7C90
	v_and_b32_e32 v219, 0xffff0000, v63                        // 000000002EB0: 27B67EFF FFFF0000
	v_lshlrev_b32_e32 v63, 16, v63                             // 000000002EB8: 247E7E90
	v_pk_add_f32 v[12:13], v[12:13], v[60:61]                  // 000000002EBC: D3B2400C 1802790C
	v_pk_add_f32 v[14:15], v[14:15], v[62:63]                  // 000000002EC4: D3B2400E 18027D0E
	v_pk_add_f32 v[28:29], v[28:29], v[216:217]                // 000000002ECC: D3B2401C 1803B11C
	v_pk_add_f32 v[30:31], v[30:31], v[218:219]                // 000000002ED4: D3B2401E 1803B51E
	v_and_b32_e32 v216, 0xffff0000, v64                        // 000000002EDC: 27B080FF FFFF0000
	v_lshlrev_b32_e32 v64, 16, v64                             // 000000002EE4: 24808090
	v_and_b32_e32 v217, 0xffff0000, v65                        // 000000002EE8: 27B282FF FFFF0000
	v_lshlrev_b32_e32 v65, 16, v65                             // 000000002EF0: 24828290
	v_and_b32_e32 v218, 0xffff0000, v66                        // 000000002EF4: 27B484FF FFFF0000
	v_lshlrev_b32_e32 v66, 16, v66                             // 000000002EFC: 24848490
	v_and_b32_e32 v219, 0xffff0000, v67                        // 000000002F00: 27B686FF FFFF0000
	v_lshlrev_b32_e32 v67, 16, v67                             // 000000002F08: 24868690
	v_pk_add_f32 v[16:17], v[16:17], v[64:65]                  // 000000002F0C: D3B24010 18028110
	v_pk_add_f32 v[18:19], v[18:19], v[66:67]                  // 000000002F14: D3B24012 18028512
	v_pk_add_f32 v[32:33], v[32:33], v[216:217]                // 000000002F1C: D3B24020 1803B120
	v_pk_add_f32 v[34:35], v[34:35], v[218:219]                // 000000002F24: D3B24022 1803B522
	buffer_load_dwordx4 v[168:171], v225, s[8:11], 0 offen     // 000000002F2C: E05C1000 8002A8E1
	buffer_load_dwordx4 v[184:187], v225, s[12:15], 0 offen    // 000000002F34: E05C1000 8003B8E1
	v_and_b32_e32 v216, 0xffff0000, v68                        // 000000002F3C: 27B088FF FFFF0000
	v_lshlrev_b32_e32 v68, 16, v68                             // 000000002F44: 24888890
	v_and_b32_e32 v217, 0xffff0000, v69                        // 000000002F48: 27B28AFF FFFF0000
	v_lshlrev_b32_e32 v69, 16, v69                             // 000000002F50: 248A8A90
	v_and_b32_e32 v218, 0xffff0000, v70                        // 000000002F54: 27B48CFF FFFF0000
	v_lshlrev_b32_e32 v70, 16, v70                             // 000000002F5C: 248C8C90
	v_and_b32_e32 v219, 0xffff0000, v71                        // 000000002F60: 27B68EFF FFFF0000
	v_lshlrev_b32_e32 v71, 16, v71                             // 000000002F68: 248E8E90
	v_pk_add_f32 v[4:5], v[4:5], v[68:69]                      // 000000002F6C: D3B24004 18028904
	v_pk_add_f32 v[6:7], v[6:7], v[70:71]                      // 000000002F74: D3B24006 18028D06
	v_pk_add_f32 v[20:21], v[20:21], v[216:217]                // 000000002F7C: D3B24014 1803B114
	v_pk_add_f32 v[22:23], v[22:23], v[218:219]                // 000000002F84: D3B24016 1803B516
	v_and_b32_e32 v216, 0xffff0000, v72                        // 000000002F8C: 27B090FF FFFF0000
	v_lshlrev_b32_e32 v72, 16, v72                             // 000000002F94: 24909090
	v_and_b32_e32 v217, 0xffff0000, v73                        // 000000002F98: 27B292FF FFFF0000
	v_lshlrev_b32_e32 v73, 16, v73                             // 000000002FA0: 24929290
	v_and_b32_e32 v218, 0xffff0000, v74                        // 000000002FA4: 27B494FF FFFF0000
	v_lshlrev_b32_e32 v74, 16, v74                             // 000000002FAC: 24949490
	v_and_b32_e32 v219, 0xffff0000, v75                        // 000000002FB0: 27B696FF FFFF0000
	v_lshlrev_b32_e32 v75, 16, v75                             // 000000002FB8: 24969690
	v_pk_add_f32 v[8:9], v[8:9], v[72:73]                      // 000000002FBC: D3B24008 18029108
	v_pk_add_f32 v[10:11], v[10:11], v[74:75]                  // 000000002FC4: D3B2400A 1802950A
	v_pk_add_f32 v[24:25], v[24:25], v[216:217]                // 000000002FCC: D3B24018 1803B118
	v_pk_add_f32 v[26:27], v[26:27], v[218:219]                // 000000002FD4: D3B2401A 1803B51A
	v_and_b32_e32 v216, 0xffff0000, v76                        // 000000002FDC: 27B098FF FFFF0000
	v_lshlrev_b32_e32 v76, 16, v76                             // 000000002FE4: 24989890
	v_and_b32_e32 v217, 0xffff0000, v77                        // 000000002FE8: 27B29AFF FFFF0000
	v_lshlrev_b32_e32 v77, 16, v77                             // 000000002FF0: 249A9A90
	v_and_b32_e32 v218, 0xffff0000, v78                        // 000000002FF4: 27B49CFF FFFF0000
	v_lshlrev_b32_e32 v78, 16, v78                             // 000000002FFC: 249C9C90
	v_and_b32_e32 v219, 0xffff0000, v79                        // 000000003000: 27B69EFF FFFF0000
	v_lshlrev_b32_e32 v79, 16, v79                             // 000000003008: 249E9E90
	v_pk_add_f32 v[12:13], v[12:13], v[76:77]                  // 00000000300C: D3B2400C 1802990C
	v_pk_add_f32 v[14:15], v[14:15], v[78:79]                  // 000000003014: D3B2400E 18029D0E
	v_pk_add_f32 v[28:29], v[28:29], v[216:217]                // 00000000301C: D3B2401C 1803B11C
	v_pk_add_f32 v[30:31], v[30:31], v[218:219]                // 000000003024: D3B2401E 1803B51E
	v_and_b32_e32 v216, 0xffff0000, v80                        // 00000000302C: 27B0A0FF FFFF0000
	v_lshlrev_b32_e32 v80, 16, v80                             // 000000003034: 24A0A090
	v_and_b32_e32 v217, 0xffff0000, v81                        // 000000003038: 27B2A2FF FFFF0000
	v_lshlrev_b32_e32 v81, 16, v81                             // 000000003040: 24A2A290
	v_and_b32_e32 v218, 0xffff0000, v82                        // 000000003044: 27B4A4FF FFFF0000
	v_lshlrev_b32_e32 v82, 16, v82                             // 00000000304C: 24A4A490
	v_and_b32_e32 v219, 0xffff0000, v83                        // 000000003050: 27B6A6FF FFFF0000
	v_lshlrev_b32_e32 v83, 16, v83                             // 000000003058: 24A6A690
	v_pk_add_f32 v[16:17], v[16:17], v[80:81]                  // 00000000305C: D3B24010 1802A110
	v_pk_add_f32 v[18:19], v[18:19], v[82:83]                  // 000000003064: D3B24012 1802A512
	v_pk_add_f32 v[32:33], v[32:33], v[216:217]                // 00000000306C: D3B24020 1803B120
	v_pk_add_f32 v[34:35], v[34:35], v[218:219]                // 000000003074: D3B24022 1803B522
	buffer_load_dwordx4 v[172:175], v226, s[8:11], 0 offen     // 00000000307C: E05C1000 8002ACE2
	buffer_load_dwordx4 v[188:191], v226, s[12:15], 0 offen    // 000000003084: E05C1000 8003BCE2
	v_and_b32_e32 v216, 0xffff0000, v84                        // 00000000308C: 27B0A8FF FFFF0000
	v_lshlrev_b32_e32 v84, 16, v84                             // 000000003094: 24A8A890
	v_and_b32_e32 v217, 0xffff0000, v85                        // 000000003098: 27B2AAFF FFFF0000
	v_lshlrev_b32_e32 v85, 16, v85                             // 0000000030A0: 24AAAA90
	v_and_b32_e32 v218, 0xffff0000, v86                        // 0000000030A4: 27B4ACFF FFFF0000
	v_lshlrev_b32_e32 v86, 16, v86                             // 0000000030AC: 24ACAC90
	v_and_b32_e32 v219, 0xffff0000, v87                        // 0000000030B0: 27B6AEFF FFFF0000
	v_lshlrev_b32_e32 v87, 16, v87                             // 0000000030B8: 24AEAE90
	v_pk_add_f32 v[4:5], v[4:5], v[84:85]                      // 0000000030BC: D3B24004 1802A904
	v_pk_add_f32 v[6:7], v[6:7], v[86:87]                      // 0000000030C4: D3B24006 1802AD06
	v_pk_add_f32 v[20:21], v[20:21], v[216:217]                // 0000000030CC: D3B24014 1803B114
	v_pk_add_f32 v[22:23], v[22:23], v[218:219]                // 0000000030D4: D3B24016 1803B516
	v_and_b32_e32 v216, 0xffff0000, v88                        // 0000000030DC: 27B0B0FF FFFF0000
	v_lshlrev_b32_e32 v88, 16, v88                             // 0000000030E4: 24B0B090
	v_and_b32_e32 v217, 0xffff0000, v89                        // 0000000030E8: 27B2B2FF FFFF0000
	v_lshlrev_b32_e32 v89, 16, v89                             // 0000000030F0: 24B2B290
	v_and_b32_e32 v218, 0xffff0000, v90                        // 0000000030F4: 27B4B4FF FFFF0000
	v_lshlrev_b32_e32 v90, 16, v90                             // 0000000030FC: 24B4B490
	v_and_b32_e32 v219, 0xffff0000, v91                        // 000000003100: 27B6B6FF FFFF0000
	v_lshlrev_b32_e32 v91, 16, v91                             // 000000003108: 24B6B690
	v_pk_add_f32 v[8:9], v[8:9], v[88:89]                      // 00000000310C: D3B24008 1802B108
	v_pk_add_f32 v[10:11], v[10:11], v[90:91]                  // 000000003114: D3B2400A 1802B50A
	v_pk_add_f32 v[24:25], v[24:25], v[216:217]                // 00000000311C: D3B24018 1803B118
	v_pk_add_f32 v[26:27], v[26:27], v[218:219]                // 000000003124: D3B2401A 1803B51A
	v_and_b32_e32 v216, 0xffff0000, v92                        // 00000000312C: 27B0B8FF FFFF0000
	v_lshlrev_b32_e32 v92, 16, v92                             // 000000003134: 24B8B890
	v_and_b32_e32 v217, 0xffff0000, v93                        // 000000003138: 27B2BAFF FFFF0000
	v_lshlrev_b32_e32 v93, 16, v93                             // 000000003140: 24BABA90
	v_and_b32_e32 v218, 0xffff0000, v94                        // 000000003144: 27B4BCFF FFFF0000
	v_lshlrev_b32_e32 v94, 16, v94                             // 00000000314C: 24BCBC90
	v_and_b32_e32 v219, 0xffff0000, v95                        // 000000003150: 27B6BEFF FFFF0000
	v_lshlrev_b32_e32 v95, 16, v95                             // 000000003158: 24BEBE90
	v_pk_add_f32 v[12:13], v[12:13], v[92:93]                  // 00000000315C: D3B2400C 1802B90C
	v_pk_add_f32 v[14:15], v[14:15], v[94:95]                  // 000000003164: D3B2400E 1802BD0E
	v_pk_add_f32 v[28:29], v[28:29], v[216:217]                // 00000000316C: D3B2401C 1803B11C
	v_pk_add_f32 v[30:31], v[30:31], v[218:219]                // 000000003174: D3B2401E 1803B51E
	v_and_b32_e32 v216, 0xffff0000, v96                        // 00000000317C: 27B0C0FF FFFF0000
	v_lshlrev_b32_e32 v96, 16, v96                             // 000000003184: 24C0C090
	v_and_b32_e32 v217, 0xffff0000, v97                        // 000000003188: 27B2C2FF FFFF0000
	v_lshlrev_b32_e32 v97, 16, v97                             // 000000003190: 24C2C290
	v_and_b32_e32 v218, 0xffff0000, v98                        // 000000003194: 27B4C4FF FFFF0000
	v_lshlrev_b32_e32 v98, 16, v98                             // 00000000319C: 24C4C490
	v_and_b32_e32 v219, 0xffff0000, v99                        // 0000000031A0: 27B6C6FF FFFF0000
	v_lshlrev_b32_e32 v99, 16, v99                             // 0000000031A8: 24C6C690
	v_pk_add_f32 v[16:17], v[16:17], v[96:97]                  // 0000000031AC: D3B24010 1802C110
	v_pk_add_f32 v[18:19], v[18:19], v[98:99]                  // 0000000031B4: D3B24012 1802C512
	v_pk_add_f32 v[32:33], v[32:33], v[216:217]                // 0000000031BC: D3B24020 1803B120
	v_pk_add_f32 v[34:35], v[34:35], v[218:219]                // 0000000031C4: D3B24022 1803B522
	buffer_load_dwordx4 v[176:179], v227, s[8:11], 0 offen     // 0000000031CC: E05C1000 8002B0E3
	buffer_load_dwordx4 v[192:195], v227, s[12:15], 0 offen    // 0000000031D4: E05C1000 8003C0E3
	v_and_b32_e32 v216, 0xffff0000, v100                       // 0000000031DC: 27B0C8FF FFFF0000
	v_lshlrev_b32_e32 v100, 16, v100                           // 0000000031E4: 24C8C890
	v_and_b32_e32 v217, 0xffff0000, v101                       // 0000000031E8: 27B2CAFF FFFF0000
	v_lshlrev_b32_e32 v101, 16, v101                           // 0000000031F0: 24CACA90
	v_and_b32_e32 v218, 0xffff0000, v102                       // 0000000031F4: 27B4CCFF FFFF0000
	v_lshlrev_b32_e32 v102, 16, v102                           // 0000000031FC: 24CCCC90
	v_and_b32_e32 v219, 0xffff0000, v103                       // 000000003200: 27B6CEFF FFFF0000
	v_lshlrev_b32_e32 v103, 16, v103                           // 000000003208: 24CECE90
	v_pk_add_f32 v[4:5], v[4:5], v[100:101]                    // 00000000320C: D3B24004 1802C904
	v_pk_add_f32 v[6:7], v[6:7], v[102:103]                    // 000000003214: D3B24006 1802CD06
	v_pk_add_f32 v[20:21], v[20:21], v[216:217]                // 00000000321C: D3B24014 1803B114
	v_pk_add_f32 v[22:23], v[22:23], v[218:219]                // 000000003224: D3B24016 1803B516
	v_and_b32_e32 v216, 0xffff0000, v104                       // 00000000322C: 27B0D0FF FFFF0000
	v_lshlrev_b32_e32 v104, 16, v104                           // 000000003234: 24D0D090
	v_and_b32_e32 v217, 0xffff0000, v105                       // 000000003238: 27B2D2FF FFFF0000
	v_lshlrev_b32_e32 v105, 16, v105                           // 000000003240: 24D2D290
	v_and_b32_e32 v218, 0xffff0000, v106                       // 000000003244: 27B4D4FF FFFF0000
	v_lshlrev_b32_e32 v106, 16, v106                           // 00000000324C: 24D4D490
	v_and_b32_e32 v219, 0xffff0000, v107                       // 000000003250: 27B6D6FF FFFF0000
	v_lshlrev_b32_e32 v107, 16, v107                           // 000000003258: 24D6D690
	v_pk_add_f32 v[8:9], v[8:9], v[104:105]                    // 00000000325C: D3B24008 1802D108
	v_pk_add_f32 v[10:11], v[10:11], v[106:107]                // 000000003264: D3B2400A 1802D50A
	v_pk_add_f32 v[24:25], v[24:25], v[216:217]                // 00000000326C: D3B24018 1803B118
	v_pk_add_f32 v[26:27], v[26:27], v[218:219]                // 000000003274: D3B2401A 1803B51A
	v_and_b32_e32 v216, 0xffff0000, v108                       // 00000000327C: 27B0D8FF FFFF0000
	v_lshlrev_b32_e32 v108, 16, v108                           // 000000003284: 24D8D890
	v_and_b32_e32 v217, 0xffff0000, v109                       // 000000003288: 27B2DAFF FFFF0000
	v_lshlrev_b32_e32 v109, 16, v109                           // 000000003290: 24DADA90
	v_and_b32_e32 v218, 0xffff0000, v110                       // 000000003294: 27B4DCFF FFFF0000
	v_lshlrev_b32_e32 v110, 16, v110                           // 00000000329C: 24DCDC90
	v_and_b32_e32 v219, 0xffff0000, v111                       // 0000000032A0: 27B6DEFF FFFF0000
	v_lshlrev_b32_e32 v111, 16, v111                           // 0000000032A8: 24DEDE90
	v_pk_add_f32 v[12:13], v[12:13], v[108:109]                // 0000000032AC: D3B2400C 1802D90C
	v_pk_add_f32 v[14:15], v[14:15], v[110:111]                // 0000000032B4: D3B2400E 1802DD0E
	v_pk_add_f32 v[28:29], v[28:29], v[216:217]                // 0000000032BC: D3B2401C 1803B11C
	v_pk_add_f32 v[30:31], v[30:31], v[218:219]                // 0000000032C4: D3B2401E 1803B51E
	v_and_b32_e32 v216, 0xffff0000, v112                       // 0000000032CC: 27B0E0FF FFFF0000
	v_lshlrev_b32_e32 v112, 16, v112                           // 0000000032D4: 24E0E090
	v_and_b32_e32 v217, 0xffff0000, v113                       // 0000000032D8: 27B2E2FF FFFF0000
	v_lshlrev_b32_e32 v113, 16, v113                           // 0000000032E0: 24E2E290
	v_and_b32_e32 v218, 0xffff0000, v114                       // 0000000032E4: 27B4E4FF FFFF0000
	v_lshlrev_b32_e32 v114, 16, v114                           // 0000000032EC: 24E4E490
	v_and_b32_e32 v219, 0xffff0000, v115                       // 0000000032F0: 27B6E6FF FFFF0000
	v_lshlrev_b32_e32 v115, 16, v115                           // 0000000032F8: 24E6E690
	v_pk_add_f32 v[16:17], v[16:17], v[112:113]                // 0000000032FC: D3B24010 1802E110
	v_pk_add_f32 v[18:19], v[18:19], v[114:115]                // 000000003304: D3B24012 1802E512
	v_pk_add_f32 v[32:33], v[32:33], v[216:217]                // 00000000330C: D3B24020 1803B120
	v_pk_add_f32 v[34:35], v[34:35], v[218:219]                // 000000003314: D3B24022 1803B522
	v_and_b32_e32 v216, 0xffff0000, v116                       // 00000000331C: 27B0E8FF FFFF0000
	v_lshlrev_b32_e32 v116, 16, v116                           // 000000003324: 24E8E890
	v_and_b32_e32 v217, 0xffff0000, v117                       // 000000003328: 27B2EAFF FFFF0000
	v_lshlrev_b32_e32 v117, 16, v117                           // 000000003330: 24EAEA90
	v_and_b32_e32 v218, 0xffff0000, v118                       // 000000003334: 27B4ECFF FFFF0000
	v_lshlrev_b32_e32 v118, 16, v118                           // 00000000333C: 24ECEC90
	v_and_b32_e32 v219, 0xffff0000, v119                       // 000000003340: 27B6EEFF FFFF0000
	v_lshlrev_b32_e32 v119, 16, v119                           // 000000003348: 24EEEE90
	v_pk_add_f32 v[4:5], v[4:5], v[116:117]                    // 00000000334C: D3B24004 1802E904
	v_pk_add_f32 v[6:7], v[6:7], v[118:119]                    // 000000003354: D3B24006 1802ED06
	v_pk_add_f32 v[20:21], v[20:21], v[216:217]                // 00000000335C: D3B24014 1803B114
	v_pk_add_f32 v[22:23], v[22:23], v[218:219]                // 000000003364: D3B24016 1803B516
	v_and_b32_e32 v216, 0xffff0000, v120                       // 00000000336C: 27B0F0FF FFFF0000
	v_lshlrev_b32_e32 v120, 16, v120                           // 000000003374: 24F0F090
	v_and_b32_e32 v217, 0xffff0000, v121                       // 000000003378: 27B2F2FF FFFF0000
	v_lshlrev_b32_e32 v121, 16, v121                           // 000000003380: 24F2F290
	v_and_b32_e32 v218, 0xffff0000, v122                       // 000000003384: 27B4F4FF FFFF0000
	v_lshlrev_b32_e32 v122, 16, v122                           // 00000000338C: 24F4F490
	v_and_b32_e32 v219, 0xffff0000, v123                       // 000000003390: 27B6F6FF FFFF0000
	v_lshlrev_b32_e32 v123, 16, v123                           // 000000003398: 24F6F690
	v_pk_add_f32 v[8:9], v[8:9], v[120:121]                    // 00000000339C: D3B24008 1802F108
	v_pk_add_f32 v[10:11], v[10:11], v[122:123]                // 0000000033A4: D3B2400A 1802F50A
	v_pk_add_f32 v[24:25], v[24:25], v[216:217]                // 0000000033AC: D3B24018 1803B118
	v_pk_add_f32 v[26:27], v[26:27], v[218:219]                // 0000000033B4: D3B2401A 1803B51A
	v_and_b32_e32 v216, 0xffff0000, v124                       // 0000000033BC: 27B0F8FF FFFF0000
	v_lshlrev_b32_e32 v124, 16, v124                           // 0000000033C4: 24F8F890
	v_and_b32_e32 v217, 0xffff0000, v125                       // 0000000033C8: 27B2FAFF FFFF0000
	v_lshlrev_b32_e32 v125, 16, v125                           // 0000000033D0: 24FAFA90
	v_and_b32_e32 v218, 0xffff0000, v126                       // 0000000033D4: 27B4FCFF FFFF0000
	v_lshlrev_b32_e32 v126, 16, v126                           // 0000000033DC: 24FCFC90
	v_and_b32_e32 v219, 0xffff0000, v127                       // 0000000033E0: 27B6FEFF FFFF0000
	v_lshlrev_b32_e32 v127, 16, v127                           // 0000000033E8: 24FEFE90
	v_pk_add_f32 v[12:13], v[12:13], v[124:125]                // 0000000033EC: D3B2400C 1802F90C
	v_pk_add_f32 v[14:15], v[14:15], v[126:127]                // 0000000033F4: D3B2400E 1802FD0E
	v_pk_add_f32 v[28:29], v[28:29], v[216:217]                // 0000000033FC: D3B2401C 1803B11C
	v_pk_add_f32 v[30:31], v[30:31], v[218:219]                // 000000003404: D3B2401E 1803B51E
	v_and_b32_e32 v216, 0xffff0000, v128                       // 00000000340C: 27B100FF FFFF0000
	v_lshlrev_b32_e32 v128, 16, v128                           // 000000003414: 25010090
	v_and_b32_e32 v217, 0xffff0000, v129                       // 000000003418: 27B302FF FFFF0000
	v_lshlrev_b32_e32 v129, 16, v129                           // 000000003420: 25030290
	v_and_b32_e32 v218, 0xffff0000, v130                       // 000000003424: 27B504FF FFFF0000
	v_lshlrev_b32_e32 v130, 16, v130                           // 00000000342C: 25050490
	v_and_b32_e32 v219, 0xffff0000, v131                       // 000000003430: 27B706FF FFFF0000
	v_lshlrev_b32_e32 v131, 16, v131                           // 000000003438: 25070690
	v_pk_add_f32 v[16:17], v[16:17], v[128:129]                // 00000000343C: D3B24010 18030110
	v_pk_add_f32 v[18:19], v[18:19], v[130:131]                // 000000003444: D3B24012 18030512
	v_pk_add_f32 v[32:33], v[32:33], v[216:217]                // 00000000344C: D3B24020 1803B120
	v_pk_add_f32 v[34:35], v[34:35], v[218:219]                // 000000003454: D3B24022 1803B522
	v_and_b32_e32 v216, 0xffff0000, v132                       // 00000000345C: 27B108FF FFFF0000
	v_lshlrev_b32_e32 v132, 16, v132                           // 000000003464: 25090890
	v_and_b32_e32 v217, 0xffff0000, v133                       // 000000003468: 27B30AFF FFFF0000
	v_lshlrev_b32_e32 v133, 16, v133                           // 000000003470: 250B0A90
	v_and_b32_e32 v218, 0xffff0000, v134                       // 000000003474: 27B50CFF FFFF0000
	v_lshlrev_b32_e32 v134, 16, v134                           // 00000000347C: 250D0C90
	v_and_b32_e32 v219, 0xffff0000, v135                       // 000000003480: 27B70EFF FFFF0000
	v_lshlrev_b32_e32 v135, 16, v135                           // 000000003488: 250F0E90
	v_pk_add_f32 v[4:5], v[4:5], v[132:133]                    // 00000000348C: D3B24004 18030904
	v_pk_add_f32 v[6:7], v[6:7], v[134:135]                    // 000000003494: D3B24006 18030D06
	v_pk_add_f32 v[20:21], v[20:21], v[216:217]                // 00000000349C: D3B24014 1803B114
	v_pk_add_f32 v[22:23], v[22:23], v[218:219]                // 0000000034A4: D3B24016 1803B516
	v_and_b32_e32 v216, 0xffff0000, v136                       // 0000000034AC: 27B110FF FFFF0000
	v_lshlrev_b32_e32 v136, 16, v136                           // 0000000034B4: 25111090
	v_and_b32_e32 v217, 0xffff0000, v137                       // 0000000034B8: 27B312FF FFFF0000
	v_lshlrev_b32_e32 v137, 16, v137                           // 0000000034C0: 25131290
	v_and_b32_e32 v218, 0xffff0000, v138                       // 0000000034C4: 27B514FF FFFF0000
	v_lshlrev_b32_e32 v138, 16, v138                           // 0000000034CC: 25151490
	v_and_b32_e32 v219, 0xffff0000, v139                       // 0000000034D0: 27B716FF FFFF0000
	v_lshlrev_b32_e32 v139, 16, v139                           // 0000000034D8: 25171690
	v_pk_add_f32 v[8:9], v[8:9], v[136:137]                    // 0000000034DC: D3B24008 18031108
	v_pk_add_f32 v[10:11], v[10:11], v[138:139]                // 0000000034E4: D3B2400A 1803150A
	v_pk_add_f32 v[24:25], v[24:25], v[216:217]                // 0000000034EC: D3B24018 1803B118
	v_pk_add_f32 v[26:27], v[26:27], v[218:219]                // 0000000034F4: D3B2401A 1803B51A
	v_and_b32_e32 v216, 0xffff0000, v140                       // 0000000034FC: 27B118FF FFFF0000
	v_lshlrev_b32_e32 v140, 16, v140                           // 000000003504: 25191890
	v_and_b32_e32 v217, 0xffff0000, v141                       // 000000003508: 27B31AFF FFFF0000
	v_lshlrev_b32_e32 v141, 16, v141                           // 000000003510: 251B1A90
	v_and_b32_e32 v218, 0xffff0000, v142                       // 000000003514: 27B51CFF FFFF0000
	v_lshlrev_b32_e32 v142, 16, v142                           // 00000000351C: 251D1C90
	v_and_b32_e32 v219, 0xffff0000, v143                       // 000000003520: 27B71EFF FFFF0000
	v_lshlrev_b32_e32 v143, 16, v143                           // 000000003528: 251F1E90
	v_pk_add_f32 v[12:13], v[12:13], v[140:141]                // 00000000352C: D3B2400C 1803190C
	v_pk_add_f32 v[14:15], v[14:15], v[142:143]                // 000000003534: D3B2400E 18031D0E
	v_pk_add_f32 v[28:29], v[28:29], v[216:217]                // 00000000353C: D3B2401C 1803B11C
	v_pk_add_f32 v[30:31], v[30:31], v[218:219]                // 000000003544: D3B2401E 1803B51E
	v_and_b32_e32 v216, 0xffff0000, v144                       // 00000000354C: 27B120FF FFFF0000
	v_lshlrev_b32_e32 v144, 16, v144                           // 000000003554: 25212090
	v_and_b32_e32 v217, 0xffff0000, v145                       // 000000003558: 27B322FF FFFF0000
	v_lshlrev_b32_e32 v145, 16, v145                           // 000000003560: 25232290
	v_and_b32_e32 v218, 0xffff0000, v146                       // 000000003564: 27B524FF FFFF0000
	v_lshlrev_b32_e32 v146, 16, v146                           // 00000000356C: 25252490
	v_and_b32_e32 v219, 0xffff0000, v147                       // 000000003570: 27B726FF FFFF0000
	v_lshlrev_b32_e32 v147, 16, v147                           // 000000003578: 25272690
	v_pk_add_f32 v[16:17], v[16:17], v[144:145]                // 00000000357C: D3B24010 18032110
	v_pk_add_f32 v[18:19], v[18:19], v[146:147]                // 000000003584: D3B24012 18032512
	v_pk_add_f32 v[32:33], v[32:33], v[216:217]                // 00000000358C: D3B24020 1803B120
	v_pk_add_f32 v[34:35], v[34:35], v[218:219]                // 000000003594: D3B24022 1803B522
	v_and_b32_e32 v216, 0xffff0000, v148                       // 00000000359C: 27B128FF FFFF0000
	v_lshlrev_b32_e32 v148, 16, v148                           // 0000000035A4: 25292890
	v_and_b32_e32 v217, 0xffff0000, v149                       // 0000000035A8: 27B32AFF FFFF0000
	v_lshlrev_b32_e32 v149, 16, v149                           // 0000000035B0: 252B2A90
	v_and_b32_e32 v218, 0xffff0000, v150                       // 0000000035B4: 27B52CFF FFFF0000
	v_lshlrev_b32_e32 v150, 16, v150                           // 0000000035BC: 252D2C90
	v_and_b32_e32 v219, 0xffff0000, v151                       // 0000000035C0: 27B72EFF FFFF0000
	v_lshlrev_b32_e32 v151, 16, v151                           // 0000000035C8: 252F2E90
	v_pk_add_f32 v[4:5], v[4:5], v[148:149]                    // 0000000035CC: D3B24004 18032904
	v_pk_add_f32 v[6:7], v[6:7], v[150:151]                    // 0000000035D4: D3B24006 18032D06
	v_pk_add_f32 v[20:21], v[20:21], v[216:217]                // 0000000035DC: D3B24014 1803B114
	v_pk_add_f32 v[22:23], v[22:23], v[218:219]                // 0000000035E4: D3B24016 1803B516
	v_and_b32_e32 v216, 0xffff0000, v152                       // 0000000035EC: 27B130FF FFFF0000
	v_lshlrev_b32_e32 v152, 16, v152                           // 0000000035F4: 25313090
	v_and_b32_e32 v217, 0xffff0000, v153                       // 0000000035F8: 27B332FF FFFF0000
	v_lshlrev_b32_e32 v153, 16, v153                           // 000000003600: 25333290
	v_and_b32_e32 v218, 0xffff0000, v154                       // 000000003604: 27B534FF FFFF0000
	v_lshlrev_b32_e32 v154, 16, v154                           // 00000000360C: 25353490
	v_and_b32_e32 v219, 0xffff0000, v155                       // 000000003610: 27B736FF FFFF0000
	v_lshlrev_b32_e32 v155, 16, v155                           // 000000003618: 25373690
	v_pk_add_f32 v[8:9], v[8:9], v[152:153]                    // 00000000361C: D3B24008 18033108
	v_pk_add_f32 v[10:11], v[10:11], v[154:155]                // 000000003624: D3B2400A 1803350A
	v_pk_add_f32 v[24:25], v[24:25], v[216:217]                // 00000000362C: D3B24018 1803B118
	v_pk_add_f32 v[26:27], v[26:27], v[218:219]                // 000000003634: D3B2401A 1803B51A
	v_and_b32_e32 v216, 0xffff0000, v156                       // 00000000363C: 27B138FF FFFF0000
	v_lshlrev_b32_e32 v156, 16, v156                           // 000000003644: 25393890
	v_and_b32_e32 v217, 0xffff0000, v157                       // 000000003648: 27B33AFF FFFF0000
	v_lshlrev_b32_e32 v157, 16, v157                           // 000000003650: 253B3A90
	v_and_b32_e32 v218, 0xffff0000, v158                       // 000000003654: 27B53CFF FFFF0000
	v_lshlrev_b32_e32 v158, 16, v158                           // 00000000365C: 253D3C90
	v_and_b32_e32 v219, 0xffff0000, v159                       // 000000003660: 27B73EFF FFFF0000
	v_lshlrev_b32_e32 v159, 16, v159                           // 000000003668: 253F3E90
	v_pk_add_f32 v[12:13], v[12:13], v[156:157]                // 00000000366C: D3B2400C 1803390C
	v_pk_add_f32 v[14:15], v[14:15], v[158:159]                // 000000003674: D3B2400E 18033D0E
	v_pk_add_f32 v[28:29], v[28:29], v[216:217]                // 00000000367C: D3B2401C 1803B11C
	v_pk_add_f32 v[30:31], v[30:31], v[218:219]                // 000000003684: D3B2401E 1803B51E
	v_and_b32_e32 v216, 0xffff0000, v160                       // 00000000368C: 27B140FF FFFF0000
	v_lshlrev_b32_e32 v160, 16, v160                           // 000000003694: 25414090
	v_and_b32_e32 v217, 0xffff0000, v161                       // 000000003698: 27B342FF FFFF0000
	v_lshlrev_b32_e32 v161, 16, v161                           // 0000000036A0: 25434290
	v_and_b32_e32 v218, 0xffff0000, v162                       // 0000000036A4: 27B544FF FFFF0000
	v_lshlrev_b32_e32 v162, 16, v162                           // 0000000036AC: 25454490
	v_and_b32_e32 v219, 0xffff0000, v163                       // 0000000036B0: 27B746FF FFFF0000
	v_lshlrev_b32_e32 v163, 16, v163                           // 0000000036B8: 25474690
	v_pk_add_f32 v[16:17], v[16:17], v[160:161]                // 0000000036BC: D3B24010 18034110
	v_pk_add_f32 v[18:19], v[18:19], v[162:163]                // 0000000036C4: D3B24012 18034512
	v_pk_add_f32 v[32:33], v[32:33], v[216:217]                // 0000000036CC: D3B24020 1803B120
	v_pk_add_f32 v[34:35], v[34:35], v[218:219]                // 0000000036D4: D3B24022 1803B522
	v_and_b32_e32 v216, 0xffff0000, v196                       // 0000000036DC: 27B188FF FFFF0000
	v_lshlrev_b32_e32 v196, 16, v196                           // 0000000036E4: 25898890
	v_and_b32_e32 v217, 0xffff0000, v197                       // 0000000036E8: 27B38AFF FFFF0000
	v_lshlrev_b32_e32 v197, 16, v197                           // 0000000036F0: 258B8A90
	v_and_b32_e32 v218, 0xffff0000, v198                       // 0000000036F4: 27B58CFF FFFF0000
	v_lshlrev_b32_e32 v198, 16, v198                           // 0000000036FC: 258D8C90
	v_and_b32_e32 v219, 0xffff0000, v199                       // 000000003700: 27B78EFF FFFF0000
	v_lshlrev_b32_e32 v199, 16, v199                           // 000000003708: 258F8E90
	v_pk_add_f32 v[4:5], v[4:5], v[196:197]                    // 00000000370C: D3B24004 18038904
	v_pk_add_f32 v[6:7], v[6:7], v[198:199]                    // 000000003714: D3B24006 18038D06
	v_pk_add_f32 v[20:21], v[20:21], v[216:217]                // 00000000371C: D3B24014 1803B114
	v_pk_add_f32 v[22:23], v[22:23], v[218:219]                // 000000003724: D3B24016 1803B516
	v_perm_b32 v196, v20, v4, s83                              // 00000000372C: D1ED00C4 014E0914
	v_perm_b32 v197, v21, v5, s83                              // 000000003734: D1ED00C5 014E0B15
	v_perm_b32 v198, v22, v6, s83                              // 00000000373C: D1ED00C6 014E0D16
	v_perm_b32 v199, v23, v7, s83                              // 000000003744: D1ED00C7 014E0F17
	v_readlane_b32 s9, v235, 33                                // 00000000374C: D2890009 000143EB
	v_readlane_b32 s8, v235, 32                                // 000000003754: D2890008 000141EB
	s_and_b32 s9, s9, 0xffff                                   // 00000000375C: 8609FF09 0000FFFF
	s_or_b32 s9, s9, 0x40000                                   // 000000003764: 8709FF09 00040000
	buffer_store_dwordx4 v[196:199], v220, s[8:11], 0 offen    // 00000000376C: E07C1000 8002C4DC
	v_readlane_b32 s13, v235, 35                               // 000000003774: D289000D 000147EB
	v_readlane_b32 s12, v235, 34                               // 00000000377C: D289000C 000145EB
	s_and_b32 s13, s13, 0xffff                                 // 000000003784: 860DFF0D 0000FFFF
	s_or_b32 s13, s13, 0x40000                                 // 00000000378C: 870DFF0D 00040000
	buffer_store_dwordx4 v[196:199], v220, s[12:15], 0 offen   // 000000003794: E07C1000 8003C4DC
	v_readlane_b32 s17, v235, 37                               // 00000000379C: D2890011 00014BEB
	v_readlane_b32 s16, v235, 36                               // 0000000037A4: D2890010 000149EB
	s_and_b32 s17, s17, 0xffff                                 // 0000000037AC: 8611FF11 0000FFFF
	s_or_b32 s17, s17, 0x40000                                 // 0000000037B4: 8711FF11 00040000
	buffer_store_dwordx4 v[196:199], v220, s[16:19], 0 offen   // 0000000037BC: E07C1000 8004C4DC
	v_readlane_b32 s21, v235, 39                               // 0000000037C4: D2890015 00014FEB
	v_readlane_b32 s20, v235, 38                               // 0000000037CC: D2890014 00014DEB
	s_and_b32 s21, s21, 0xffff                                 // 0000000037D4: 8615FF15 0000FFFF
	s_or_b32 s21, s21, 0x40000                                 // 0000000037DC: 8715FF15 00040000
	buffer_store_dwordx4 v[196:199], v220, s[20:23], 0 offen   // 0000000037E4: E07C1000 8005C4DC
	v_readlane_b32 s25, v235, 41                               // 0000000037EC: D2890019 000153EB
	v_readlane_b32 s24, v235, 40                               // 0000000037F4: D2890018 000151EB
	s_and_b32 s25, s25, 0xffff                                 // 0000000037FC: 8619FF19 0000FFFF
	s_or_b32 s25, s25, 0x40000                                 // 000000003804: 8719FF19 00040000
	buffer_store_dwordx4 v[196:199], v220, s[24:27], 0 offen   // 00000000380C: E07C1000 8006C4DC
	v_readlane_b32 s29, v235, 43                               // 000000003814: D289001D 000157EB
	v_readlane_b32 s28, v235, 42                               // 00000000381C: D289001C 000155EB
	s_and_b32 s29, s29, 0xffff                                 // 000000003824: 861DFF1D 0000FFFF
	s_or_b32 s29, s29, 0x40000                                 // 00000000382C: 871DFF1D 00040000
	buffer_store_dwordx4 v[196:199], v220, s[28:31], 0 offen   // 000000003834: E07C1000 8007C4DC
	v_readlane_b32 s33, v235, 45                               // 00000000383C: D2890021 00015BEB
	v_readlane_b32 s32, v235, 44                               // 000000003844: D2890020 000159EB
	s_and_b32 s33, s33, 0xffff                                 // 00000000384C: 8621FF21 0000FFFF
	s_or_b32 s33, s33, 0x40000                                 // 000000003854: 8721FF21 00040000
	buffer_store_dwordx4 v[196:199], v220, s[32:35], 0 offen   // 00000000385C: E07C1000 8008C4DC
	v_readlane_b32 s37, v235, 47                               // 000000003864: D2890025 00015FEB
	v_readlane_b32 s36, v235, 46                               // 00000000386C: D2890024 00015DEB
	s_and_b32 s37, s37, 0xffff                                 // 000000003874: 8625FF25 0000FFFF
	s_or_b32 s37, s37, 0x40000                                 // 00000000387C: 8725FF25 00040000
	buffer_store_dwordx4 v[196:199], v220, s[36:39], 0 offen   // 000000003884: E07C1000 8009C4DC
	v_and_b32_e32 v216, 0xffff0000, v200                       // 00000000388C: 27B190FF FFFF0000
	v_lshlrev_b32_e32 v200, 16, v200                           // 000000003894: 25919090
	v_and_b32_e32 v217, 0xffff0000, v201                       // 000000003898: 27B392FF FFFF0000
	v_lshlrev_b32_e32 v201, 16, v201                           // 0000000038A0: 25939290
	v_and_b32_e32 v218, 0xffff0000, v202                       // 0000000038A4: 27B594FF FFFF0000
	v_lshlrev_b32_e32 v202, 16, v202                           // 0000000038AC: 25959490
	v_and_b32_e32 v219, 0xffff0000, v203                       // 0000000038B0: 27B796FF FFFF0000
	v_lshlrev_b32_e32 v203, 16, v203                           // 0000000038B8: 25979690
	v_pk_add_f32 v[8:9], v[8:9], v[200:201]                    // 0000000038BC: D3B24008 18039108
	v_pk_add_f32 v[10:11], v[10:11], v[202:203]                // 0000000038C4: D3B2400A 1803950A
	v_pk_add_f32 v[24:25], v[24:25], v[216:217]                // 0000000038CC: D3B24018 1803B118
	v_pk_add_f32 v[26:27], v[26:27], v[218:219]                // 0000000038D4: D3B2401A 1803B51A
	v_perm_b32 v200, v24, v8, s83                              // 0000000038DC: D1ED00C8 014E1118
	v_perm_b32 v201, v25, v9, s83                              // 0000000038E4: D1ED00C9 014E1319
	v_perm_b32 v202, v26, v10, s83                             // 0000000038EC: D1ED00CA 014E151A
	v_perm_b32 v203, v27, v11, s83                             // 0000000038F4: D1ED00CB 014E171B
	buffer_store_dwordx4 v[200:203], v221, s[8:11], 0 offen    // 0000000038FC: E07C1000 8002C8DD
	buffer_store_dwordx4 v[200:203], v221, s[12:15], 0 offen   // 000000003904: E07C1000 8003C8DD
	buffer_store_dwordx4 v[200:203], v221, s[16:19], 0 offen   // 00000000390C: E07C1000 8004C8DD
	buffer_store_dwordx4 v[200:203], v221, s[20:23], 0 offen   // 000000003914: E07C1000 8005C8DD
	buffer_store_dwordx4 v[200:203], v221, s[24:27], 0 offen   // 00000000391C: E07C1000 8006C8DD
	buffer_store_dwordx4 v[200:203], v221, s[28:31], 0 offen   // 000000003924: E07C1000 8007C8DD
	buffer_store_dwordx4 v[200:203], v221, s[32:35], 0 offen   // 00000000392C: E07C1000 8008C8DD
	buffer_store_dwordx4 v[200:203], v221, s[36:39], 0 offen   // 000000003934: E07C1000 8009C8DD
	v_and_b32_e32 v216, 0xffff0000, v204                       // 00000000393C: 27B198FF FFFF0000
	v_lshlrev_b32_e32 v204, 16, v204                           // 000000003944: 25999890
	v_and_b32_e32 v217, 0xffff0000, v205                       // 000000003948: 27B39AFF FFFF0000
	v_lshlrev_b32_e32 v205, 16, v205                           // 000000003950: 259B9A90
	v_and_b32_e32 v218, 0xffff0000, v206                       // 000000003954: 27B59CFF FFFF0000
	v_lshlrev_b32_e32 v206, 16, v206                           // 00000000395C: 259D9C90
	v_and_b32_e32 v219, 0xffff0000, v207                       // 000000003960: 27B79EFF FFFF0000
	v_lshlrev_b32_e32 v207, 16, v207                           // 000000003968: 259F9E90
	v_pk_add_f32 v[12:13], v[12:13], v[204:205]                // 00000000396C: D3B2400C 1803990C
	v_pk_add_f32 v[14:15], v[14:15], v[206:207]                // 000000003974: D3B2400E 18039D0E
	v_pk_add_f32 v[28:29], v[28:29], v[216:217]                // 00000000397C: D3B2401C 1803B11C
	v_pk_add_f32 v[30:31], v[30:31], v[218:219]                // 000000003984: D3B2401E 1803B51E
	v_perm_b32 v204, v28, v12, s83                             // 00000000398C: D1ED00CC 014E191C
	v_perm_b32 v205, v29, v13, s83                             // 000000003994: D1ED00CD 014E1B1D
	v_perm_b32 v206, v30, v14, s83                             // 00000000399C: D1ED00CE 014E1D1E
	v_perm_b32 v207, v31, v15, s83                             // 0000000039A4: D1ED00CF 014E1F1F
	buffer_store_dwordx4 v[204:207], v222, s[8:11], 0 offen    // 0000000039AC: E07C1000 8002CCDE
	buffer_store_dwordx4 v[204:207], v222, s[12:15], 0 offen   // 0000000039B4: E07C1000 8003CCDE
	buffer_store_dwordx4 v[204:207], v222, s[16:19], 0 offen   // 0000000039BC: E07C1000 8004CCDE
	buffer_store_dwordx4 v[204:207], v222, s[20:23], 0 offen   // 0000000039C4: E07C1000 8005CCDE
	buffer_store_dwordx4 v[204:207], v222, s[24:27], 0 offen   // 0000000039CC: E07C1000 8006CCDE
	buffer_store_dwordx4 v[204:207], v222, s[28:31], 0 offen   // 0000000039D4: E07C1000 8007CCDE
	buffer_store_dwordx4 v[204:207], v222, s[32:35], 0 offen   // 0000000039DC: E07C1000 8008CCDE
	buffer_store_dwordx4 v[204:207], v222, s[36:39], 0 offen   // 0000000039E4: E07C1000 8009CCDE
	v_and_b32_e32 v216, 0xffff0000, v208                       // 0000000039EC: 27B1A0FF FFFF0000
	v_lshlrev_b32_e32 v208, 16, v208                           // 0000000039F4: 25A1A090
	v_and_b32_e32 v217, 0xffff0000, v209                       // 0000000039F8: 27B3A2FF FFFF0000
	v_lshlrev_b32_e32 v209, 16, v209                           // 000000003A00: 25A3A290
	v_and_b32_e32 v218, 0xffff0000, v210                       // 000000003A04: 27B5A4FF FFFF0000
	v_lshlrev_b32_e32 v210, 16, v210                           // 000000003A0C: 25A5A490
	v_and_b32_e32 v219, 0xffff0000, v211                       // 000000003A10: 27B7A6FF FFFF0000
	v_lshlrev_b32_e32 v211, 16, v211                           // 000000003A18: 25A7A690
	v_pk_add_f32 v[16:17], v[16:17], v[208:209]                // 000000003A1C: D3B24010 1803A110
	v_pk_add_f32 v[18:19], v[18:19], v[210:211]                // 000000003A24: D3B24012 1803A512
	v_pk_add_f32 v[32:33], v[32:33], v[216:217]                // 000000003A2C: D3B24020 1803B120
	v_pk_add_f32 v[34:35], v[34:35], v[218:219]                // 000000003A34: D3B24022 1803B522
	v_perm_b32 v208, v32, v16, s83                             // 000000003A3C: D1ED00D0 014E2120
	v_perm_b32 v209, v33, v17, s83                             // 000000003A44: D1ED00D1 014E2321
	v_perm_b32 v210, v34, v18, s83                             // 000000003A4C: D1ED00D2 014E2522
	v_perm_b32 v211, v35, v19, s83                             // 000000003A54: D1ED00D3 014E2723
	buffer_store_dwordx4 v[208:211], v223, s[8:11], 0 offen    // 000000003A5C: E07C1000 8002D0DF
	buffer_store_dwordx4 v[208:211], v223, s[12:15], 0 offen   // 000000003A64: E07C1000 8003D0DF
	buffer_store_dwordx4 v[208:211], v223, s[16:19], 0 offen   // 000000003A6C: E07C1000 8004D0DF
	buffer_store_dwordx4 v[208:211], v223, s[20:23], 0 offen   // 000000003A74: E07C1000 8005D0DF
	buffer_store_dwordx4 v[208:211], v223, s[24:27], 0 offen   // 000000003A7C: E07C1000 8006D0DF
	buffer_store_dwordx4 v[208:211], v223, s[28:31], 0 offen   // 000000003A84: E07C1000 8007D0DF
	buffer_store_dwordx4 v[208:211], v223, s[32:35], 0 offen   // 000000003A8C: E07C1000 8008D0DF
	buffer_store_dwordx4 v[208:211], v223, s[36:39], 0 offen   // 000000003A94: E07C1000 8009D0DF
	v_pk_mov_b32 v[36:37], 0, 0                                // 000000003A9C: D3B34024 18010080
	v_pk_mov_b32 v[38:39], 0, 0                                // 000000003AA4: D3B34026 18010080
	v_pk_add_f32 v[36:37], v[36:37], v[4:5]                    // 000000003AAC: D3B24024 18020924
	v_pk_add_f32 v[36:37], v[36:37], v[6:7]                    // 000000003AB4: D3B24024 18020D24
	v_pk_add_f32 v[36:37], v[36:37], v[8:9]                    // 000000003ABC: D3B24024 18021124
	v_pk_add_f32 v[36:37], v[36:37], v[10:11]                  // 000000003AC4: D3B24024 18021524
	v_pk_add_f32 v[36:37], v[36:37], v[12:13]                  // 000000003ACC: D3B24024 18021924
	v_pk_add_f32 v[36:37], v[36:37], v[14:15]                  // 000000003AD4: D3B24024 18021D24
	v_pk_add_f32 v[36:37], v[36:37], v[16:17]                  // 000000003ADC: D3B24024 18022124
	v_pk_add_f32 v[36:37], v[36:37], v[18:19]                  // 000000003AE4: D3B24024 18022524
	v_pk_add_f32 v[36:37], v[36:37], v[20:21]                  // 000000003AEC: D3B24024 18022924
	v_pk_add_f32 v[36:37], v[36:37], v[22:23]                  // 000000003AF4: D3B24024 18022D24
	v_pk_add_f32 v[36:37], v[36:37], v[24:25]                  // 000000003AFC: D3B24024 18023124
	v_pk_add_f32 v[36:37], v[36:37], v[26:27]                  // 000000003B04: D3B24024 18023524
	v_pk_add_f32 v[36:37], v[36:37], v[28:29]                  // 000000003B0C: D3B24024 18023924
	v_pk_add_f32 v[36:37], v[36:37], v[30:31]                  // 000000003B14: D3B24024 18023D24
	v_pk_add_f32 v[36:37], v[36:37], v[32:33]                  // 000000003B1C: D3B24024 18024124
	v_pk_add_f32 v[36:37], v[36:37], v[34:35]                  // 000000003B24: D3B24024 18024524
	v_pk_fma_f32 v[38:39], v[4:5], v[4:5], v[38:39]            // 000000003B2C: D3B04026 1C9A0904
	v_pk_fma_f32 v[38:39], v[6:7], v[6:7], v[38:39]            // 000000003B34: D3B04026 1C9A0D06
	v_pk_fma_f32 v[38:39], v[8:9], v[8:9], v[38:39]            // 000000003B3C: D3B04026 1C9A1108
	v_pk_fma_f32 v[38:39], v[10:11], v[10:11], v[38:39]        // 000000003B44: D3B04026 1C9A150A
	v_pk_fma_f32 v[38:39], v[12:13], v[12:13], v[38:39]        // 000000003B4C: D3B04026 1C9A190C
	v_pk_fma_f32 v[38:39], v[14:15], v[14:15], v[38:39]        // 000000003B54: D3B04026 1C9A1D0E
	v_pk_fma_f32 v[38:39], v[16:17], v[16:17], v[38:39]        // 000000003B5C: D3B04026 1C9A2110
	v_pk_fma_f32 v[38:39], v[18:19], v[18:19], v[38:39]        // 000000003B64: D3B04026 1C9A2512
	v_pk_fma_f32 v[38:39], v[20:21], v[20:21], v[38:39]        // 000000003B6C: D3B04026 1C9A2914
	v_pk_fma_f32 v[38:39], v[22:23], v[22:23], v[38:39]        // 000000003B74: D3B04026 1C9A2D16
	v_pk_fma_f32 v[38:39], v[24:25], v[24:25], v[38:39]        // 000000003B7C: D3B04026 1C9A3118
	v_pk_fma_f32 v[38:39], v[26:27], v[26:27], v[38:39]        // 000000003B84: D3B04026 1C9A351A
	v_pk_fma_f32 v[38:39], v[28:29], v[28:29], v[38:39]        // 000000003B8C: D3B04026 1C9A391C
	v_pk_fma_f32 v[38:39], v[30:31], v[30:31], v[38:39]        // 000000003B94: D3B04026 1C9A3D1E
	v_pk_fma_f32 v[38:39], v[32:33], v[32:33], v[38:39]        // 000000003B9C: D3B04026 1C9A4120
	v_pk_fma_f32 v[38:39], v[34:35], v[34:35], v[38:39]        // 000000003BA4: D3B04026 1C9A4522
	v_add_f32_e32 v36, v36, v37                                // 000000003BAC: 02484B24
	v_add_f32_e32 v38, v38, v39                                // 000000003BB0: 024C4F26
	ds_write_b32 v229, v36 offset:1024                         // 000000003BB4: D81A0400 000024E5
	ds_write_b32 v229, v38 offset:2048                         // 000000003BBC: D81A0800 000026E5
	s_waitcnt lgkmcnt(0)                                       // 000000003BC4: BF8CC07F
	s_barrier                                                  // 000000003BC8: BF8A0000
	ds_read_b32 v36, v228 offset:1024                          // 000000003BCC: D86C0400 240000E4
	ds_read_b32 v37, v228 offset:1088                          // 000000003BD4: D86C0440 250000E4
	ds_read_b32 v38, v228 offset:1152                          // 000000003BDC: D86C0480 260000E4
	ds_read_b32 v39, v228 offset:1216                          // 000000003BE4: D86C04C0 270000E4
	ds_read_b32 v40, v228 offset:1280                          // 000000003BEC: D86C0500 280000E4
	ds_read_b32 v41, v228 offset:1344                          // 000000003BF4: D86C0540 290000E4
	ds_read_b32 v42, v228 offset:1408                          // 000000003BFC: D86C0580 2A0000E4
	ds_read_b32 v43, v228 offset:1472                          // 000000003C04: D86C05C0 2B0000E4
	ds_read_b32 v44, v228 offset:1536                          // 000000003C0C: D86C0600 2C0000E4
	ds_read_b32 v45, v228 offset:1600                          // 000000003C14: D86C0640 2D0000E4
	ds_read_b32 v46, v228 offset:1664                          // 000000003C1C: D86C0680 2E0000E4
	ds_read_b32 v47, v228 offset:1728                          // 000000003C24: D86C06C0 2F0000E4
	ds_read_b32 v48, v228 offset:1792                          // 000000003C2C: D86C0700 300000E4
	ds_read_b32 v49, v228 offset:1856                          // 000000003C34: D86C0740 310000E4
	ds_read_b32 v50, v228 offset:1920                          // 000000003C3C: D86C0780 320000E4
	ds_read_b32 v51, v228 offset:1984                          // 000000003C44: D86C07C0 330000E4
	ds_read_b32 v52, v228 offset:2048                          // 000000003C4C: D86C0800 340000E4
	ds_read_b32 v53, v228 offset:2112                          // 000000003C54: D86C0840 350000E4
	ds_read_b32 v54, v228 offset:2176                          // 000000003C5C: D86C0880 360000E4
	ds_read_b32 v55, v228 offset:2240                          // 000000003C64: D86C08C0 370000E4
	ds_read_b32 v56, v228 offset:2304                          // 000000003C6C: D86C0900 380000E4
	ds_read_b32 v57, v228 offset:2368                          // 000000003C74: D86C0940 390000E4
	ds_read_b32 v58, v228 offset:2432                          // 000000003C7C: D86C0980 3A0000E4
	ds_read_b32 v59, v228 offset:2496                          // 000000003C84: D86C09C0 3B0000E4
	ds_read_b32 v60, v228 offset:2560                          // 000000003C8C: D86C0A00 3C0000E4
	ds_read_b32 v61, v228 offset:2624                          // 000000003C94: D86C0A40 3D0000E4
	ds_read_b32 v62, v228 offset:2688                          // 000000003C9C: D86C0A80 3E0000E4
	ds_read_b32 v63, v228 offset:2752                          // 000000003CA4: D86C0AC0 3F0000E4
	ds_read_b32 v64, v228 offset:2816                          // 000000003CAC: D86C0B00 400000E4
	ds_read_b32 v65, v228 offset:2880                          // 000000003CB4: D86C0B40 410000E4
	ds_read_b32 v66, v228 offset:2944                          // 000000003CBC: D86C0B80 420000E4
	ds_read_b32 v67, v228 offset:3008                          // 000000003CC4: D86C0BC0 430000E4
	s_waitcnt lgkmcnt(0)                                       // 000000003CCC: BF8CC07F
	v_pk_add_f32 v[36:37], v[36:37], v[38:39]                  // 000000003CD0: D3B24024 18024D24
	v_pk_add_f32 v[36:37], v[36:37], v[40:41]                  // 000000003CD8: D3B24024 18025124
	v_pk_add_f32 v[36:37], v[36:37], v[42:43]                  // 000000003CE0: D3B24024 18025524
	v_pk_add_f32 v[36:37], v[36:37], v[44:45]                  // 000000003CE8: D3B24024 18025924
	v_pk_add_f32 v[36:37], v[36:37], v[46:47]                  // 000000003CF0: D3B24024 18025D24
	v_pk_add_f32 v[36:37], v[36:37], v[48:49]                  // 000000003CF8: D3B24024 18026124
	v_pk_add_f32 v[36:37], v[36:37], v[50:51]                  // 000000003D00: D3B24024 18026524
	v_add_f32_e32 v36, v36, v37                                // 000000003D08: 02484B24
	v_pk_add_f32 v[52:53], v[52:53], v[54:55]                  // 000000003D0C: D3B24034 18026D34
	v_pk_add_f32 v[52:53], v[52:53], v[56:57]                  // 000000003D14: D3B24034 18027134
	v_pk_add_f32 v[52:53], v[52:53], v[58:59]                  // 000000003D1C: D3B24034 18027534
	v_pk_add_f32 v[52:53], v[52:53], v[60:61]                  // 000000003D24: D3B24034 18027934
	v_pk_add_f32 v[52:53], v[52:53], v[62:63]                  // 000000003D2C: D3B24034 18027D34
	v_pk_add_f32 v[52:53], v[52:53], v[64:65]                  // 000000003D34: D3B24034 18028134
	v_pk_add_f32 v[52:53], v[52:53], v[66:67]                  // 000000003D3C: D3B24034 18028534
	v_add_f32_e32 v52, v52, v53                                // 000000003D44: 02686B34
	v_mov_b32_dpp v216, v36 row_ror:8 row_mask:0xf bank_mask:0xf// 000000003D48: 7FB002FA FF012824
	v_add_f32_e32 v36, v216, v36                               // 000000003D50: 024849D8
	v_mov_b32_dpp v217, v52 row_ror:8 row_mask:0xf bank_mask:0xf// 000000003D54: 7FB202FA FF012834
	v_add_f32_e32 v52, v217, v52                               // 000000003D5C: 026869D9
	v_mov_b32_dpp v216, v36 row_ror:4 row_mask:0xf bank_mask:0xf// 000000003D60: 7FB002FA FF012424
	v_add_f32_e32 v36, v216, v36                               // 000000003D68: 024849D8
	v_mov_b32_dpp v217, v52 row_ror:4 row_mask:0xf bank_mask:0xf// 000000003D6C: 7FB202FA FF012434
	v_add_f32_e32 v52, v217, v52                               // 000000003D74: 026869D9
	v_mov_b32_dpp v216, v36 row_ror:2 row_mask:0xf bank_mask:0xf// 000000003D78: 7FB002FA FF012224
	v_add_f32_e32 v36, v216, v36                               // 000000003D80: 024849D8
	v_mov_b32_dpp v217, v52 row_ror:2 row_mask:0xf bank_mask:0xf// 000000003D84: 7FB202FA FF012234
	v_add_f32_e32 v52, v217, v52                               // 000000003D8C: 026869D9
	v_mov_b32_dpp v216, v36 row_ror:1 row_mask:0xf bank_mask:0xf// 000000003D90: 7FB002FA FF012124
	v_add_f32_e32 v36, v216, v36                               // 000000003D98: 024849D8
	v_mov_b32_dpp v217, v52 row_ror:1 row_mask:0xf bank_mask:0xf// 000000003D9C: 7FB202FA FF012134
	v_add_f32_e32 v52, v217, v52                               // 000000003DA4: 026869D9
	v_mul_f32_e32 v36, v36, v230                               // 000000003DA8: 0A49CD24
	v_mul_f32_e32 v38, v52, v230                               // 000000003DAC: 0A4DCD34
	v_add_f32_e64 v38, v38, s63                                // 000000003DB0: D1010026 00007F26
	v_rsq_f32_e32 v38, v38                                     // 000000003DB8: 7E4C4926
	s_nop 1                                                    // 000000003DBC: BF800001
	v_mov_b32_e32 v39, v38                                     // 000000003DC0: 7E4E0326
	v_pk_mul_f32 v[4:5], v[4:5], v[38:39]                      // 000000003DC4: D3B14004 18024D04
	v_pk_mul_f32 v[6:7], v[6:7], v[38:39]                      // 000000003DCC: D3B14006 18024D06
	v_pk_mul_f32 v[20:21], v[20:21], v[38:39]                  // 000000003DD4: D3B14014 18024D14
	v_pk_mul_f32 v[22:23], v[22:23], v[38:39]                  // 000000003DDC: D3B14016 18024D16
	s_waitcnt vmcnt(38)                                        // 000000003DE4: BF8C8F76
	v_and_b32_e32 v216, 0xffff0000, v164                       // 000000003DE8: 27B148FF FFFF0000
	v_lshlrev_b32_e32 v164, 16, v164                           // 000000003DF0: 25494890
	v_and_b32_e32 v217, 0xffff0000, v165                       // 000000003DF4: 27B34AFF FFFF0000
	v_lshlrev_b32_e32 v165, 16, v165                           // 000000003DFC: 254B4A90
	v_and_b32_e32 v218, 0xffff0000, v166                       // 000000003E00: 27B54CFF FFFF0000
	v_lshlrev_b32_e32 v166, 16, v166                           // 000000003E08: 254D4C90
	v_and_b32_e32 v219, 0xffff0000, v167                       // 000000003E0C: 27B74EFF FFFF0000
	v_lshlrev_b32_e32 v167, 16, v167                           // 000000003E14: 254F4E90
	v_pk_mul_f32 v[4:5], v[4:5], v[164:165]                    // 000000003E18: D3B14004 18034904
	v_pk_mul_f32 v[6:7], v[6:7], v[166:167]                    // 000000003E20: D3B14006 18034D06
	v_pk_mul_f32 v[20:21], v[20:21], v[216:217]                // 000000003E28: D3B14014 1803B114
	v_pk_mul_f32 v[22:23], v[22:23], v[218:219]                // 000000003E30: D3B14016 1803B516
	v_and_b32_e32 v216, 0xffff0000, v180                       // 000000003E38: 27B168FF FFFF0000
	v_lshlrev_b32_e32 v180, 16, v180                           // 000000003E40: 25696890
	v_and_b32_e32 v217, 0xffff0000, v181                       // 000000003E44: 27B36AFF FFFF0000
	v_lshlrev_b32_e32 v181, 16, v181                           // 000000003E4C: 256B6A90
	v_and_b32_e32 v218, 0xffff0000, v182                       // 000000003E50: 27B56CFF FFFF0000
	v_lshlrev_b32_e32 v182, 16, v182                           // 000000003E58: 256D6C90
	v_and_b32_e32 v219, 0xffff0000, v183                       // 000000003E5C: 27B76EFF FFFF0000
	v_lshlrev_b32_e32 v183, 16, v183                           // 000000003E64: 256F6E90
	v_pk_add_f32 v[4:5], v[4:5], v[180:181]                    // 000000003E68: D3B24004 18036904
	v_pk_add_f32 v[6:7], v[6:7], v[182:183]                    // 000000003E70: D3B24006 18036D06
	v_pk_add_f32 v[20:21], v[20:21], v[216:217]                // 000000003E78: D3B24014 1803B114
	v_pk_add_f32 v[22:23], v[22:23], v[218:219]                // 000000003E80: D3B24016 1803B516
	v_perm_b32 v4, v20, v4, s83                                // 000000003E88: D1ED0004 014E0914
	v_perm_b32 v5, v21, v5, s83                                // 000000003E90: D1ED0005 014E0B15
	v_perm_b32 v6, v22, v6, s83                                // 000000003E98: D1ED0006 014E0D16
	v_perm_b32 v7, v23, v7, s83                                // 000000003EA0: D1ED0007 014E0F17
	v_readlane_b32 s9, v235, 17                                // 000000003EA8: D2890009 000123EB
	v_readlane_b32 s8, v235, 16                                // 000000003EB0: D2890008 000121EB
	s_and_b32 s9, s9, 0xffff                                   // 000000003EB8: 8609FF09 0000FFFF
	s_or_b32 s9, s9, 0x40000                                   // 000000003EC0: 8709FF09 00040000
	buffer_store_dwordx4 v[4:7], v220, s[8:11], 0 offen        // 000000003EC8: E07C1000 800204DC
	v_readlane_b32 s13, v235, 19                               // 000000003ED0: D289000D 000127EB
	v_readlane_b32 s12, v235, 18                               // 000000003ED8: D289000C 000125EB
	s_and_b32 s13, s13, 0xffff                                 // 000000003EE0: 860DFF0D 0000FFFF
	s_or_b32 s13, s13, 0x40000                                 // 000000003EE8: 870DFF0D 00040000
	buffer_store_dwordx4 v[4:7], v220, s[12:15], 0 offen       // 000000003EF0: E07C1000 800304DC
	v_readlane_b32 s17, v235, 21                               // 000000003EF8: D2890011 00012BEB
	v_readlane_b32 s16, v235, 20                               // 000000003F00: D2890010 000129EB
	s_and_b32 s17, s17, 0xffff                                 // 000000003F08: 8611FF11 0000FFFF
	s_or_b32 s17, s17, 0x40000                                 // 000000003F10: 8711FF11 00040000
	buffer_store_dwordx4 v[4:7], v220, s[16:19], 0 offen       // 000000003F18: E07C1000 800404DC
	v_readlane_b32 s21, v235, 23                               // 000000003F20: D2890015 00012FEB
	v_readlane_b32 s20, v235, 22                               // 000000003F28: D2890014 00012DEB
	s_and_b32 s21, s21, 0xffff                                 // 000000003F30: 8615FF15 0000FFFF
	s_or_b32 s21, s21, 0x40000                                 // 000000003F38: 8715FF15 00040000
	buffer_store_dwordx4 v[4:7], v220, s[20:23], 0 offen       // 000000003F40: E07C1000 800504DC
	v_readlane_b32 s25, v235, 25                               // 000000003F48: D2890019 000133EB
	v_readlane_b32 s24, v235, 24                               // 000000003F50: D2890018 000131EB
	s_and_b32 s25, s25, 0xffff                                 // 000000003F58: 8619FF19 0000FFFF
	s_or_b32 s25, s25, 0x40000                                 // 000000003F60: 8719FF19 00040000
	buffer_store_dwordx4 v[4:7], v220, s[24:27], 0 offen       // 000000003F68: E07C1000 800604DC
	v_readlane_b32 s29, v235, 27                               // 000000003F70: D289001D 000137EB
	v_readlane_b32 s28, v235, 26                               // 000000003F78: D289001C 000135EB
	s_and_b32 s29, s29, 0xffff                                 // 000000003F80: 861DFF1D 0000FFFF
	s_or_b32 s29, s29, 0x40000                                 // 000000003F88: 871DFF1D 00040000
	buffer_store_dwordx4 v[4:7], v220, s[28:31], 0 offen       // 000000003F90: E07C1000 800704DC
	v_readlane_b32 s33, v235, 29                               // 000000003F98: D2890021 00013BEB
	v_readlane_b32 s32, v235, 28                               // 000000003FA0: D2890020 000139EB
	s_and_b32 s33, s33, 0xffff                                 // 000000003FA8: 8621FF21 0000FFFF
	s_or_b32 s33, s33, 0x40000                                 // 000000003FB0: 8721FF21 00040000
	buffer_store_dwordx4 v[4:7], v220, s[32:35], 0 offen       // 000000003FB8: E07C1000 800804DC
	v_readlane_b32 s37, v235, 31                               // 000000003FC0: D2890025 00013FEB
	v_readlane_b32 s36, v235, 30                               // 000000003FC8: D2890024 00013DEB
	s_and_b32 s37, s37, 0xffff                                 // 000000003FD0: 8625FF25 0000FFFF
	s_or_b32 s37, s37, 0x40000                                 // 000000003FD8: 8725FF25 00040000
	buffer_store_dwordx4 v[4:7], v220, s[36:39], 0 offen       // 000000003FE0: E07C1000 800904DC
	v_pk_mul_f32 v[8:9], v[8:9], v[38:39]                      // 000000003FE8: D3B14008 18024D08
	v_pk_mul_f32 v[10:11], v[10:11], v[38:39]                  // 000000003FF0: D3B1400A 18024D0A
	v_pk_mul_f32 v[24:25], v[24:25], v[38:39]                  // 000000003FF8: D3B14018 18024D18
	v_pk_mul_f32 v[26:27], v[26:27], v[38:39]                  // 000000004000: D3B1401A 18024D1A
	s_waitcnt vmcnt(44)                                        // 000000004008: BF8C8F7C
	v_and_b32_e32 v216, 0xffff0000, v168                       // 00000000400C: 27B150FF FFFF0000
	v_lshlrev_b32_e32 v168, 16, v168                           // 000000004014: 25515090
	v_and_b32_e32 v217, 0xffff0000, v169                       // 000000004018: 27B352FF FFFF0000
	v_lshlrev_b32_e32 v169, 16, v169                           // 000000004020: 25535290
	v_and_b32_e32 v218, 0xffff0000, v170                       // 000000004024: 27B554FF FFFF0000
	v_lshlrev_b32_e32 v170, 16, v170                           // 00000000402C: 25555490
	v_and_b32_e32 v219, 0xffff0000, v171                       // 000000004030: 27B756FF FFFF0000
	v_lshlrev_b32_e32 v171, 16, v171                           // 000000004038: 25575690
	v_pk_mul_f32 v[8:9], v[8:9], v[168:169]                    // 00000000403C: D3B14008 18035108
	v_pk_mul_f32 v[10:11], v[10:11], v[170:171]                // 000000004044: D3B1400A 1803550A
	v_pk_mul_f32 v[24:25], v[24:25], v[216:217]                // 00000000404C: D3B14018 1803B118
	v_pk_mul_f32 v[26:27], v[26:27], v[218:219]                // 000000004054: D3B1401A 1803B51A
	v_and_b32_e32 v216, 0xffff0000, v184                       // 00000000405C: 27B170FF FFFF0000
	v_lshlrev_b32_e32 v184, 16, v184                           // 000000004064: 25717090
	v_and_b32_e32 v217, 0xffff0000, v185                       // 000000004068: 27B372FF FFFF0000
	v_lshlrev_b32_e32 v185, 16, v185                           // 000000004070: 25737290
	v_and_b32_e32 v218, 0xffff0000, v186                       // 000000004074: 27B574FF FFFF0000
	v_lshlrev_b32_e32 v186, 16, v186                           // 00000000407C: 25757490
	v_and_b32_e32 v219, 0xffff0000, v187                       // 000000004080: 27B776FF FFFF0000
	v_lshlrev_b32_e32 v187, 16, v187                           // 000000004088: 25777690
	v_pk_add_f32 v[8:9], v[8:9], v[184:185]                    // 00000000408C: D3B24008 18037108
	v_pk_add_f32 v[10:11], v[10:11], v[186:187]                // 000000004094: D3B2400A 1803750A
	v_pk_add_f32 v[24:25], v[24:25], v[216:217]                // 00000000409C: D3B24018 1803B118
	v_pk_add_f32 v[26:27], v[26:27], v[218:219]                // 0000000040A4: D3B2401A 1803B51A
	v_perm_b32 v8, v24, v8, s83                                // 0000000040AC: D1ED0008 014E1118
	v_perm_b32 v9, v25, v9, s83                                // 0000000040B4: D1ED0009 014E1319
	v_perm_b32 v10, v26, v10, s83                              // 0000000040BC: D1ED000A 014E151A
	v_perm_b32 v11, v27, v11, s83                              // 0000000040C4: D1ED000B 014E171B
	buffer_store_dwordx4 v[8:11], v221, s[8:11], 0 offen       // 0000000040CC: E07C1000 800208DD
	buffer_store_dwordx4 v[8:11], v221, s[12:15], 0 offen      // 0000000040D4: E07C1000 800308DD
	buffer_store_dwordx4 v[8:11], v221, s[16:19], 0 offen      // 0000000040DC: E07C1000 800408DD
	buffer_store_dwordx4 v[8:11], v221, s[20:23], 0 offen      // 0000000040E4: E07C1000 800508DD
	buffer_store_dwordx4 v[8:11], v221, s[24:27], 0 offen      // 0000000040EC: E07C1000 800608DD
	buffer_store_dwordx4 v[8:11], v221, s[28:31], 0 offen      // 0000000040F4: E07C1000 800708DD
	buffer_store_dwordx4 v[8:11], v221, s[32:35], 0 offen      // 0000000040FC: E07C1000 800808DD
	buffer_store_dwordx4 v[8:11], v221, s[36:39], 0 offen      // 000000004104: E07C1000 800908DD
	v_pk_mul_f32 v[12:13], v[12:13], v[38:39]                  // 00000000410C: D3B1400C 18024D0C
	v_pk_mul_f32 v[14:15], v[14:15], v[38:39]                  // 000000004114: D3B1400E 18024D0E
	v_pk_mul_f32 v[28:29], v[28:29], v[38:39]                  // 00000000411C: D3B1401C 18024D1C
	v_pk_mul_f32 v[30:31], v[30:31], v[38:39]                  // 000000004124: D3B1401E 18024D1E
	s_waitcnt vmcnt(50)                                        // 00000000412C: BF8CCF72
	v_and_b32_e32 v216, 0xffff0000, v172                       // 000000004130: 27B158FF FFFF0000
	v_lshlrev_b32_e32 v172, 16, v172                           // 000000004138: 25595890
	v_and_b32_e32 v217, 0xffff0000, v173                       // 00000000413C: 27B35AFF FFFF0000
	v_lshlrev_b32_e32 v173, 16, v173                           // 000000004144: 255B5A90
	v_and_b32_e32 v218, 0xffff0000, v174                       // 000000004148: 27B55CFF FFFF0000
	v_lshlrev_b32_e32 v174, 16, v174                           // 000000004150: 255D5C90
	v_and_b32_e32 v219, 0xffff0000, v175                       // 000000004154: 27B75EFF FFFF0000
	v_lshlrev_b32_e32 v175, 16, v175                           // 00000000415C: 255F5E90
	v_pk_mul_f32 v[12:13], v[12:13], v[172:173]                // 000000004160: D3B1400C 1803590C
	v_pk_mul_f32 v[14:15], v[14:15], v[174:175]                // 000000004168: D3B1400E 18035D0E
	v_pk_mul_f32 v[28:29], v[28:29], v[216:217]                // 000000004170: D3B1401C 1803B11C
	v_pk_mul_f32 v[30:31], v[30:31], v[218:219]                // 000000004178: D3B1401E 1803B51E
	v_and_b32_e32 v216, 0xffff0000, v188                       // 000000004180: 27B178FF FFFF0000
	v_lshlrev_b32_e32 v188, 16, v188                           // 000000004188: 25797890
	v_and_b32_e32 v217, 0xffff0000, v189                       // 00000000418C: 27B37AFF FFFF0000
	v_lshlrev_b32_e32 v189, 16, v189                           // 000000004194: 257B7A90
	v_and_b32_e32 v218, 0xffff0000, v190                       // 000000004198: 27B57CFF FFFF0000
	v_lshlrev_b32_e32 v190, 16, v190                           // 0000000041A0: 257D7C90
	v_and_b32_e32 v219, 0xffff0000, v191                       // 0000000041A4: 27B77EFF FFFF0000
	v_lshlrev_b32_e32 v191, 16, v191                           // 0000000041AC: 257F7E90
	v_pk_add_f32 v[12:13], v[12:13], v[188:189]                // 0000000041B0: D3B2400C 1803790C
	v_pk_add_f32 v[14:15], v[14:15], v[190:191]                // 0000000041B8: D3B2400E 18037D0E
	v_pk_add_f32 v[28:29], v[28:29], v[216:217]                // 0000000041C0: D3B2401C 1803B11C
	v_pk_add_f32 v[30:31], v[30:31], v[218:219]                // 0000000041C8: D3B2401E 1803B51E
	v_perm_b32 v12, v28, v12, s83                              // 0000000041D0: D1ED000C 014E191C
	v_perm_b32 v13, v29, v13, s83                              // 0000000041D8: D1ED000D 014E1B1D
	v_perm_b32 v14, v30, v14, s83                              // 0000000041E0: D1ED000E 014E1D1E
	v_perm_b32 v15, v31, v15, s83                              // 0000000041E8: D1ED000F 014E1F1F
	buffer_store_dwordx4 v[12:15], v222, s[8:11], 0 offen      // 0000000041F0: E07C1000 80020CDE
	buffer_store_dwordx4 v[12:15], v222, s[12:15], 0 offen     // 0000000041F8: E07C1000 80030CDE
	buffer_store_dwordx4 v[12:15], v222, s[16:19], 0 offen     // 000000004200: E07C1000 80040CDE
	buffer_store_dwordx4 v[12:15], v222, s[20:23], 0 offen     // 000000004208: E07C1000 80050CDE
	buffer_store_dwordx4 v[12:15], v222, s[24:27], 0 offen     // 000000004210: E07C1000 80060CDE
	buffer_store_dwordx4 v[12:15], v222, s[28:31], 0 offen     // 000000004218: E07C1000 80070CDE
	buffer_store_dwordx4 v[12:15], v222, s[32:35], 0 offen     // 000000004220: E07C1000 80080CDE
	buffer_store_dwordx4 v[12:15], v222, s[36:39], 0 offen     // 000000004228: E07C1000 80090CDE
	v_pk_mul_f32 v[16:17], v[16:17], v[38:39]                  // 000000004230: D3B14010 18024D10
	v_pk_mul_f32 v[18:19], v[18:19], v[38:39]                  // 000000004238: D3B14012 18024D12
	v_pk_mul_f32 v[32:33], v[32:33], v[38:39]                  // 000000004240: D3B14020 18024D20
	v_pk_mul_f32 v[34:35], v[34:35], v[38:39]                  // 000000004248: D3B14022 18024D22
	s_waitcnt vmcnt(56)                                        // 000000004250: BF8CCF78
	v_and_b32_e32 v216, 0xffff0000, v176                       // 000000004254: 27B160FF FFFF0000
	v_lshlrev_b32_e32 v176, 16, v176                           // 00000000425C: 25616090
	v_and_b32_e32 v217, 0xffff0000, v177                       // 000000004260: 27B362FF FFFF0000
	v_lshlrev_b32_e32 v177, 16, v177                           // 000000004268: 25636290
	v_and_b32_e32 v218, 0xffff0000, v178                       // 00000000426C: 27B564FF FFFF0000
	v_lshlrev_b32_e32 v178, 16, v178                           // 000000004274: 25656490
	v_and_b32_e32 v219, 0xffff0000, v179                       // 000000004278: 27B766FF FFFF0000
	v_lshlrev_b32_e32 v179, 16, v179                           // 000000004280: 25676690
	v_pk_mul_f32 v[16:17], v[16:17], v[176:177]                // 000000004284: D3B14010 18036110
	v_pk_mul_f32 v[18:19], v[18:19], v[178:179]                // 00000000428C: D3B14012 18036512
	v_pk_mul_f32 v[32:33], v[32:33], v[216:217]                // 000000004294: D3B14020 1803B120
	v_pk_mul_f32 v[34:35], v[34:35], v[218:219]                // 00000000429C: D3B14022 1803B522
	v_and_b32_e32 v216, 0xffff0000, v192                       // 0000000042A4: 27B180FF FFFF0000
	v_lshlrev_b32_e32 v192, 16, v192                           // 0000000042AC: 25818090
	v_and_b32_e32 v217, 0xffff0000, v193                       // 0000000042B0: 27B382FF FFFF0000
	v_lshlrev_b32_e32 v193, 16, v193                           // 0000000042B8: 25838290
	v_and_b32_e32 v218, 0xffff0000, v194                       // 0000000042BC: 27B584FF FFFF0000
	v_lshlrev_b32_e32 v194, 16, v194                           // 0000000042C4: 25858490
	v_and_b32_e32 v219, 0xffff0000, v195                       // 0000000042C8: 27B786FF FFFF0000
	v_lshlrev_b32_e32 v195, 16, v195                           // 0000000042D0: 25878690
	v_pk_add_f32 v[16:17], v[16:17], v[192:193]                // 0000000042D4: D3B24010 18038110
	v_pk_add_f32 v[18:19], v[18:19], v[194:195]                // 0000000042DC: D3B24012 18038512
	v_pk_add_f32 v[32:33], v[32:33], v[216:217]                // 0000000042E4: D3B24020 1803B120
	v_pk_add_f32 v[34:35], v[34:35], v[218:219]                // 0000000042EC: D3B24022 1803B522
	v_perm_b32 v16, v32, v16, s83                              // 0000000042F4: D1ED0010 014E2120
	v_perm_b32 v17, v33, v17, s83                              // 0000000042FC: D1ED0011 014E2321
	v_perm_b32 v18, v34, v18, s83                              // 000000004304: D1ED0012 014E2522
	v_perm_b32 v19, v35, v19, s83                              // 00000000430C: D1ED0013 014E2723
	buffer_store_dwordx4 v[16:19], v223, s[8:11], 0 offen      // 000000004314: E07C1000 800210DF
	buffer_store_dwordx4 v[16:19], v223, s[12:15], 0 offen     // 00000000431C: E07C1000 800310DF
	buffer_store_dwordx4 v[16:19], v223, s[16:19], 0 offen     // 000000004324: E07C1000 800410DF
	buffer_store_dwordx4 v[16:19], v223, s[20:23], 0 offen     // 00000000432C: E07C1000 800510DF
	buffer_store_dwordx4 v[16:19], v223, s[24:27], 0 offen     // 000000004334: E07C1000 800610DF
	buffer_store_dwordx4 v[16:19], v223, s[28:31], 0 offen     // 00000000433C: E07C1000 800710DF
	buffer_store_dwordx4 v[16:19], v223, s[32:35], 0 offen     // 000000004344: E07C1000 800810DF
	buffer_store_dwordx4 v[16:19], v223, s[36:39], 0 offen     // 00000000434C: E07C1000 800910DF
	s_waitcnt vmcnt(7)                                         // 000000004354: BF8C0F77
	s_add_i32 s84, s93, 4                                      // 000000004358: 8154845D
	s_atomic_inc s80, s[40:41], s84                            // 00000000435C: C22C1414 00000054
	s_waitcnt vmcnt(6)                                         // 000000004364: BF8C0F76
	s_add_i32 s84, s93, 4                                      // 000000004368: 8154845D
	s_atomic_inc s80, s[42:43], s84                            // 00000000436C: C22C1415 00000054
	s_waitcnt vmcnt(5)                                         // 000000004374: BF8C0F75
	s_add_i32 s84, s93, 4                                      // 000000004378: 8154845D
	s_atomic_inc s80, s[44:45], s84                            // 00000000437C: C22C1416 00000054
	s_waitcnt vmcnt(4)                                         // 000000004384: BF8C0F74
	s_add_i32 s84, s93, 4                                      // 000000004388: 8154845D
	s_atomic_inc s80, s[46:47], s84                            // 00000000438C: C22C1417 00000054
	s_waitcnt vmcnt(3)                                         // 000000004394: BF8C0F73
	s_add_i32 s84, s93, 4                                      // 000000004398: 8154845D
	s_atomic_inc s80, s[48:49], s84                            // 00000000439C: C22C1418 00000054
	s_waitcnt vmcnt(2)                                         // 0000000043A4: BF8C0F72
	s_add_i32 s84, s93, 4                                      // 0000000043A8: 8154845D
	s_atomic_inc s80, s[50:51], s84                            // 0000000043AC: C22C1419 00000054
	s_waitcnt vmcnt(1)                                         // 0000000043B4: BF8C0F71
	s_add_i32 s84, s93, 4                                      // 0000000043B8: 8154845D
	s_atomic_inc s80, s[52:53], s84                            // 0000000043BC: C22C141A 00000054
	s_waitcnt vmcnt(0)                                         // 0000000043C4: BF8C0F70
	s_add_i32 s84, s93, 4                                      // 0000000043C8: 8154845D
	s_atomic_inc s80, s[54:55], s84                            // 0000000043CC: C22C141B 00000054
	s_mov_b32 s81, 0xff                                        // 0000000043D4: BED100FF 000000FF

00000000000043dc <label_07F7>:
	s_cmp_eq_u32 s81, 0                                        // 0000000043DC: BF068051
	s_cbranch_scc1 label_0879                                  // 0000000043E0: BF850080
	s_mov_b32 s7, 0                                            // 0000000043E4: BE870080

00000000000043e8 <label_07FA>:
	s_nop 15                                                   // 0000000043E8: BF80000F
	s_addk_i32 s7, 0x1                                         // 0000000043EC: B7070001
	s_cmp_lt_i32 s7, s6                                        // 0000000043F0: BF040607
	s_cbranch_scc0 label_07FF                                  // 0000000043F4: BF840001
	s_branch label_07FA                                        // 0000000043F8: BF82FFFB

00000000000043fc <label_07FF>:
	s_lshl_b32 s84, s82, 0                                     // 0000000043FC: 8E548052
	s_nor_b32 s85, s84, 0                                      // 000000004400: 8C558054
	s_and_b32 s86, s84, s81                                    // 000000004404: 86565154
	s_cmp_eq_u32 s86, 0                                        // 000000004408: BF068056
	s_cbranch_scc1 label_0809                                  // 00000000440C: BF850005
	s_mul_i32 s84, s92, 0                                      // 000000004410: 9254805C
	s_add_i32 s85, s94, s84                                    // 000000004414: 8155545E
	s_add_i32 s85, s85, 4                                      // 000000004418: 81558455
	s_load_dword s72, s[56:57], s85 glc                        // 00000000441C: C001121C 00000055

0000000000004424 <label_0809>:
	s_lshl_b32 s84, s82, 1                                     // 000000004424: 8E548152
	s_nor_b32 s85, s84, 0                                      // 000000004428: 8C558054
	s_and_b32 s86, s84, s81                                    // 00000000442C: 86565154
	s_cmp_eq_u32 s86, 0                                        // 000000004430: BF068056
	s_cbranch_scc1 label_0813                                  // 000000004434: BF850005
	s_mul_i32 s84, s92, 1                                      // 000000004438: 9254815C
	s_add_i32 s85, s94, s84                                    // 00000000443C: 8155545E
	s_add_i32 s85, s85, 4                                      // 000000004440: 81558455
	s_load_dword s73, s[56:57], s85 glc                        // 000000004444: C001125C 00000055

000000000000444c <label_0813>:
	s_lshl_b32 s84, s82, 2                                     // 00000000444C: 8E548252
	s_nor_b32 s85, s84, 0                                      // 000000004450: 8C558054
	s_and_b32 s86, s84, s81                                    // 000000004454: 86565154
	s_cmp_eq_u32 s86, 0                                        // 000000004458: BF068056
	s_cbranch_scc1 label_081D                                  // 00000000445C: BF850005
	s_mul_i32 s84, s92, 2                                      // 000000004460: 9254825C
	s_add_i32 s85, s94, s84                                    // 000000004464: 8155545E
	s_add_i32 s85, s85, 4                                      // 000000004468: 81558455
	s_load_dword s74, s[56:57], s85 glc                        // 00000000446C: C001129C 00000055

0000000000004474 <label_081D>:
	s_lshl_b32 s84, s82, 3                                     // 000000004474: 8E548352
	s_nor_b32 s85, s84, 0                                      // 000000004478: 8C558054
	s_and_b32 s86, s84, s81                                    // 00000000447C: 86565154
	s_cmp_eq_u32 s86, 0                                        // 000000004480: BF068056
	s_cbranch_scc1 label_0827                                  // 000000004484: BF850005
	s_mul_i32 s84, s92, 3                                      // 000000004488: 9254835C
	s_add_i32 s85, s94, s84                                    // 00000000448C: 8155545E
	s_add_i32 s85, s85, 4                                      // 000000004490: 81558455
	s_load_dword s75, s[56:57], s85 glc                        // 000000004494: C00112DC 00000055

000000000000449c <label_0827>:
	s_lshl_b32 s84, s82, 4                                     // 00000000449C: 8E548452
	s_nor_b32 s85, s84, 0                                      // 0000000044A0: 8C558054
	s_and_b32 s86, s84, s81                                    // 0000000044A4: 86565154
	s_cmp_eq_u32 s86, 0                                        // 0000000044A8: BF068056
	s_cbranch_scc1 label_0831                                  // 0000000044AC: BF850005
	s_mul_i32 s84, s92, 4                                      // 0000000044B0: 9254845C
	s_add_i32 s85, s94, s84                                    // 0000000044B4: 8155545E
	s_add_i32 s85, s85, 4                                      // 0000000044B8: 81558455
	s_load_dword s76, s[56:57], s85 glc                        // 0000000044BC: C001131C 00000055

00000000000044c4 <label_0831>:
	s_lshl_b32 s84, s82, 5                                     // 0000000044C4: 8E548552
	s_nor_b32 s85, s84, 0                                      // 0000000044C8: 8C558054
	s_and_b32 s86, s84, s81                                    // 0000000044CC: 86565154
	s_cmp_eq_u32 s86, 0                                        // 0000000044D0: BF068056
	s_cbranch_scc1 label_083B                                  // 0000000044D4: BF850005
	s_mul_i32 s84, s92, 5                                      // 0000000044D8: 9254855C
	s_add_i32 s85, s94, s84                                    // 0000000044DC: 8155545E
	s_add_i32 s85, s85, 4                                      // 0000000044E0: 81558455
	s_load_dword s77, s[56:57], s85 glc                        // 0000000044E4: C001135C 00000055

00000000000044ec <label_083B>:
	s_lshl_b32 s84, s82, 6                                     // 0000000044EC: 8E548652
	s_nor_b32 s85, s84, 0                                      // 0000000044F0: 8C558054
	s_and_b32 s86, s84, s81                                    // 0000000044F4: 86565154
	s_cmp_eq_u32 s86, 0                                        // 0000000044F8: BF068056
	s_cbranch_scc1 label_0845                                  // 0000000044FC: BF850005
	s_mul_i32 s84, s92, 6                                      // 000000004500: 9254865C
	s_add_i32 s85, s94, s84                                    // 000000004504: 8155545E
	s_add_i32 s85, s85, 4                                      // 000000004508: 81558455
	s_load_dword s78, s[56:57], s85 glc                        // 00000000450C: C001139C 00000055

0000000000004514 <label_0845>:
	s_lshl_b32 s84, s82, 7                                     // 000000004514: 8E548752
	s_nor_b32 s85, s84, 0                                      // 000000004518: 8C558054
	s_and_b32 s86, s84, s81                                    // 00000000451C: 86565154
	s_cmp_eq_u32 s86, 0                                        // 000000004520: BF068056
	s_cbranch_scc1 label_084F                                  // 000000004524: BF850005
	s_mul_i32 s84, s92, 7                                      // 000000004528: 9254875C
	s_add_i32 s85, s94, s84                                    // 00000000452C: 8155545E
	s_add_i32 s85, s85, 4                                      // 000000004530: 81558455
	s_load_dword s79, s[56:57], s85 glc                        // 000000004534: C00113DC 00000055

000000000000453c <label_084F>:
	s_waitcnt lgkmcnt(0)                                       // 00000000453C: BF8CC07F
	s_lshl_b32 s84, s82, 0                                     // 000000004540: 8E548052
	s_nor_b32 s85, s84, 0                                      // 000000004544: 8C558054
	s_cmp_eq_u32 s72, 4                                        // 000000004548: BF068448
	s_cbranch_scc0 label_0855                                  // 00000000454C: BF840001
	s_and_b32 s81, s85, s81                                    // 000000004550: 86515155

0000000000004554 <label_0855>:
	s_lshl_b32 s84, s82, 1                                     // 000000004554: 8E548152
	s_nor_b32 s85, s84, 0                                      // 000000004558: 8C558054
	s_cmp_eq_u32 s73, 4                                        // 00000000455C: BF068449
	s_cbranch_scc0 label_085A                                  // 000000004560: BF840001
	s_and_b32 s81, s85, s81                                    // 000000004564: 86515155

0000000000004568 <label_085A>:
	s_lshl_b32 s84, s82, 2                                     // 000000004568: 8E548252
	s_nor_b32 s85, s84, 0                                      // 00000000456C: 8C558054
	s_cmp_eq_u32 s74, 4                                        // 000000004570: BF06844A
	s_cbranch_scc0 label_085F                                  // 000000004574: BF840001
	s_and_b32 s81, s85, s81                                    // 000000004578: 86515155

000000000000457c <label_085F>:
	s_lshl_b32 s84, s82, 3                                     // 00000000457C: 8E548352
	s_nor_b32 s85, s84, 0                                      // 000000004580: 8C558054
	s_cmp_eq_u32 s75, 4                                        // 000000004584: BF06844B
	s_cbranch_scc0 label_0864                                  // 000000004588: BF840001
	s_and_b32 s81, s85, s81                                    // 00000000458C: 86515155

0000000000004590 <label_0864>:
	s_lshl_b32 s84, s82, 4                                     // 000000004590: 8E548452
	s_nor_b32 s85, s84, 0                                      // 000000004594: 8C558054
	s_cmp_eq_u32 s76, 4                                        // 000000004598: BF06844C
	s_cbranch_scc0 label_0869                                  // 00000000459C: BF840001
	s_and_b32 s81, s85, s81                                    // 0000000045A0: 86515155

00000000000045a4 <label_0869>:
	s_lshl_b32 s84, s82, 5                                     // 0000000045A4: 8E548552
	s_nor_b32 s85, s84, 0                                      // 0000000045A8: 8C558054
	s_cmp_eq_u32 s77, 4                                        // 0000000045AC: BF06844D
	s_cbranch_scc0 label_086E                                  // 0000000045B0: BF840001
	s_and_b32 s81, s85, s81                                    // 0000000045B4: 86515155

00000000000045b8 <label_086E>:
	s_lshl_b32 s84, s82, 6                                     // 0000000045B8: 8E548652
	s_nor_b32 s85, s84, 0                                      // 0000000045BC: 8C558054
	s_cmp_eq_u32 s78, 4                                        // 0000000045C0: BF06844E
	s_cbranch_scc0 label_0873                                  // 0000000045C4: BF840001
	s_and_b32 s81, s85, s81                                    // 0000000045C8: 86515155

00000000000045cc <label_0873>:
	s_lshl_b32 s84, s82, 7                                     // 0000000045CC: 8E548752
	s_nor_b32 s85, s84, 0                                      // 0000000045D0: 8C558054
	s_cmp_eq_u32 s79, 4                                        // 0000000045D4: BF06844F
	s_cbranch_scc0 label_0878                                  // 0000000045D8: BF840001
	s_and_b32 s81, s85, s81                                    // 0000000045DC: 86515155

00000000000045e0 <label_0878>:
	s_branch label_07F7                                        // 0000000045E0: BF82FF7E

00000000000045e4 <label_0879>:
	s_cmp_eq_u32 s5, 0                                         // 0000000045E4: BF068005
	s_cbranch_scc0 label_089D                                  // 0000000045E8: BF840022
	s_cmp_eq_u32 s2, 0                                         // 0000000045EC: BF068002
	s_cbranch_scc0 label_089D                                  // 0000000045F0: BF840020
	s_mul_i32 s86, s92, 0                                      // 0000000045F4: 9256805C
	s_mov_b32 s84, 0                                           // 0000000045F8: BED40080
	s_store_dword s84, s[56:57], s86 glc                       // 0000000045FC: C041151C 00000056
	s_mul_i32 s86, s92, 1                                      // 000000004604: 9256815C
	s_mov_b32 s84, 0                                           // 000000004608: BED40080
	s_store_dword s84, s[56:57], s86 glc                       // 00000000460C: C041151C 00000056
	s_mul_i32 s86, s92, 2                                      // 000000004614: 9256825C
	s_mov_b32 s84, 0                                           // 000000004618: BED40080
	s_store_dword s84, s[56:57], s86 glc                       // 00000000461C: C041151C 00000056
	s_mul_i32 s86, s92, 3                                      // 000000004624: 9256835C
	s_mov_b32 s84, 0                                           // 000000004628: BED40080
	s_store_dword s84, s[56:57], s86 glc                       // 00000000462C: C041151C 00000056
	s_mul_i32 s86, s92, 4                                      // 000000004634: 9256845C
	s_mov_b32 s84, 0                                           // 000000004638: BED40080
	s_store_dword s84, s[56:57], s86 glc                       // 00000000463C: C041151C 00000056
	s_mul_i32 s86, s92, 5                                      // 000000004644: 9256855C
	s_mov_b32 s84, 0                                           // 000000004648: BED40080
	s_store_dword s84, s[56:57], s86 glc                       // 00000000464C: C041151C 00000056
	s_mul_i32 s86, s92, 6                                      // 000000004654: 9256865C
	s_mov_b32 s84, 0                                           // 000000004658: BED40080
	s_store_dword s84, s[56:57], s86 glc                       // 00000000465C: C041151C 00000056
	s_mul_i32 s86, s92, 7                                      // 000000004664: 9256875C
	s_mov_b32 s84, 0                                           // 000000004668: BED40080
	s_store_dword s84, s[56:57], s86 glc                       // 00000000466C: C041151C 00000056

0000000000004674 <label_089D>:
	s_barrier                                                  // 000000004674: BF8A0000
	s_cmp_eq_u32 s5, 0                                         // 000000004678: BF068005
	s_cbranch_scc0 label_08D8                                  // 00000000467C: BF840038
	s_mul_i32 s84, s92, 0                                      // 000000004680: 9254805C
	s_add_i32 s86, s94, s84                                    // 000000004684: 8156545E
	s_mov_b32 s84, 0                                           // 000000004688: BED40080
	s_mov_b32 s85, 0                                           // 00000000468C: BED50080
	s_add_i32 s86, s86, 4                                      // 000000004690: 81568456
	s_store_dword s84, s[56:57], s86 glc                       // 000000004694: C041151C 00000056
	s_mul_i32 s84, s92, 1                                      // 00000000469C: 9254815C
	s_add_i32 s86, s94, s84                                    // 0000000046A0: 8156545E
	s_mov_b32 s84, 0                                           // 0000000046A4: BED40080
	s_mov_b32 s85, 0                                           // 0000000046A8: BED50080
	s_add_i32 s86, s86, 4                                      // 0000000046AC: 81568456
	s_store_dword s84, s[56:57], s86 glc                       // 0000000046B0: C041151C 00000056
	s_mul_i32 s84, s92, 2                                      // 0000000046B8: 9254825C
	s_add_i32 s86, s94, s84                                    // 0000000046BC: 8156545E
	s_mov_b32 s84, 0                                           // 0000000046C0: BED40080
	s_mov_b32 s85, 0                                           // 0000000046C4: BED50080
	s_add_i32 s86, s86, 4                                      // 0000000046C8: 81568456
	s_store_dword s84, s[56:57], s86 glc                       // 0000000046CC: C041151C 00000056
	s_mul_i32 s84, s92, 3                                      // 0000000046D4: 9254835C
	s_add_i32 s86, s94, s84                                    // 0000000046D8: 8156545E
	s_mov_b32 s84, 0                                           // 0000000046DC: BED40080
	s_mov_b32 s85, 0                                           // 0000000046E0: BED50080
	s_add_i32 s86, s86, 4                                      // 0000000046E4: 81568456
	s_store_dword s84, s[56:57], s86 glc                       // 0000000046E8: C041151C 00000056
	s_mul_i32 s84, s92, 4                                      // 0000000046F0: 9254845C
	s_add_i32 s86, s94, s84                                    // 0000000046F4: 8156545E
	s_mov_b32 s84, 0                                           // 0000000046F8: BED40080
	s_mov_b32 s85, 0                                           // 0000000046FC: BED50080
	s_add_i32 s86, s86, 4                                      // 000000004700: 81568456
	s_store_dword s84, s[56:57], s86 glc                       // 000000004704: C041151C 00000056
	s_mul_i32 s84, s92, 5                                      // 00000000470C: 9254855C
	s_add_i32 s86, s94, s84                                    // 000000004710: 8156545E
	s_mov_b32 s84, 0                                           // 000000004714: BED40080
	s_mov_b32 s85, 0                                           // 000000004718: BED50080
	s_add_i32 s86, s86, 4                                      // 00000000471C: 81568456
	s_store_dword s84, s[56:57], s86 glc                       // 000000004720: C041151C 00000056
	s_mul_i32 s84, s92, 6                                      // 000000004728: 9254865C
	s_add_i32 s86, s94, s84                                    // 00000000472C: 8156545E
	s_mov_b32 s84, 0                                           // 000000004730: BED40080
	s_mov_b32 s85, 0                                           // 000000004734: BED50080
	s_add_i32 s86, s86, 4                                      // 000000004738: 81568456
	s_store_dword s84, s[56:57], s86 glc                       // 00000000473C: C041151C 00000056
	s_mul_i32 s84, s92, 7                                      // 000000004744: 9254875C
	s_add_i32 s86, s94, s84                                    // 000000004748: 8156545E
	s_mov_b32 s84, 0                                           // 00000000474C: BED40080
	s_mov_b32 s85, 0                                           // 000000004750: BED50080
	s_add_i32 s86, s86, 4                                      // 000000004754: 81568456
	s_store_dword s84, s[56:57], s86 glc                       // 000000004758: C041151C 00000056

0000000000004760 <label_08D8>:
	s_waitcnt vmcnt(0) expcnt(0) lgkmcnt(0)                    // 000000004760: BF8C0000
	s_endpgm                                                   // 000000004764: BF810000
